;; amdgpu-corpus repo=ROCm/Tensile kind=harvested arch=n/a opt=n/a

/******************************************/
/* Function Prefix                        */
/******************************************/



/******************************************/
/* Begin Kernel                           */
/******************************************/

// Component.Signature.SignatureDefault
.amdgcn_target "amdgcn-amd-amdhsa--gfx90a"
.text
.protected Cijk_Ailk_Bljk_I8II_BH_GB_MT128x96x128_MI32x32x8x1_SE_1LDSB0_APM1_AF0EM8_AF1EM1_AMAS0_ASGT_ASLT_ASAE01_ASCE01_ASEM1_BL1_BS1_CLR0_DTLA0_DTLB0_DTVA0_DVO0_EPS1_FL0_GLVWA16_GLVWB16_GRVW16_GSU1_GSUASB_GLS0_ISA90a_IU1_K1_KLA_LBSPPA0_LBSPPB128_LPA0_LPB16_LDL1_LRVW16_LDW0_FMA_MIAV0_MMFGLC_NTA0_NTB0_NTC0_NTD0_NEPBS0_NLCA1_NLCB1_ONLL1_OPLV0_PK0_PAP0_PGR1_PLR17_SIA3_SS0_SU0_SUM0_SUS0_SCIUI1_SPO0_SRVW4_SSO0_SVW4_SNLL0_TT1_96_TLDS1_UMLDSA0_UMLDSB1_USFGROn1_VAW1_VSn1_VW1_VWB1_VFLRP0_WSGRA1_WSGRB1_WG128_2_1_WGM15
.globl Cijk_Ailk_Bljk_I8II_BH_GB_MT128x96x128_MI32x32x8x1_SE_1LDSB0_APM1_AF0EM8_AF1EM1_AMAS0_ASGT_ASLT_ASAE01_ASCE01_ASEM1_BL1_BS1_CLR0_DTLA0_DTLB0_DTVA0_DVO0_EPS1_FL0_GLVWA16_GLVWB16_GRVW16_GSU1_GSUASB_GLS0_ISA90a_IU1_K1_KLA_LBSPPA0_LBSPPB128_LPA0_LPB16_LDL1_LRVW16_LDW0_FMA_MIAV0_MMFGLC_NTA0_NTB0_NTC0_NTD0_NEPBS0_NLCA1_NLCB1_ONLL1_OPLV0_PK0_PAP0_PGR1_PLR17_SIA3_SS0_SU0_SUM0_SUS0_SCIUI1_SPO0_SRVW4_SSO0_SVW4_SNLL0_TT1_96_TLDS1_UMLDSA0_UMLDSB1_USFGROn1_VAW1_VSn1_VW1_VWB1_VFLRP0_WSGRA1_WSGRB1_WG128_2_1_WGM15
.p2align 8
.type Cijk_Ailk_Bljk_I8II_BH_GB_MT128x96x128_MI32x32x8x1_SE_1LDSB0_APM1_AF0EM8_AF1EM1_AMAS0_ASGT_ASLT_ASAE01_ASCE01_ASEM1_BL1_BS1_CLR0_DTLA0_DTLB0_DTVA0_DVO0_EPS1_FL0_GLVWA16_GLVWB16_GRVW16_GSU1_GSUASB_GLS0_ISA90a_IU1_K1_KLA_LBSPPA0_LBSPPB128_LPA0_LPB16_LDL1_LRVW16_LDW0_FMA_MIAV0_MMFGLC_NTA0_NTB0_NTC0_NTD0_NEPBS0_NLCA1_NLCB1_ONLL1_OPLV0_PK0_PAP0_PGR1_PLR17_SIA3_SS0_SU0_SUM0_SUS0_SCIUI1_SPO0_SRVW4_SSO0_SVW4_SNLL0_TT1_96_TLDS1_UMLDSA0_UMLDSB1_USFGROn1_VAW1_VSn1_VW1_VWB1_VFLRP0_WSGRA1_WSGRB1_WG128_2_1_WGM15,@function
.section .rodata,#alloc
.p2align 6
.amdhsa_kernel Cijk_Ailk_Bljk_I8II_BH_GB_MT128x96x128_MI32x32x8x1_SE_1LDSB0_APM1_AF0EM8_AF1EM1_AMAS0_ASGT_ASLT_ASAE01_ASCE01_ASEM1_BL1_BS1_CLR0_DTLA0_DTLB0_DTVA0_DVO0_EPS1_FL0_GLVWA16_GLVWB16_GRVW16_GSU1_GSUASB_GLS0_ISA90a_IU1_K1_KLA_LBSPPA0_LBSPPB128_LPA0_LPB16_LDL1_LRVW16_LDW0_FMA_MIAV0_MMFGLC_NTA0_NTB0_NTC0_NTD0_NEPBS0_NLCA1_NLCB1_ONLL1_OPLV0_PK0_PAP0_PGR1_PLR17_SIA3_SS0_SU0_SUM0_SUS0_SCIUI1_SPO0_SRVW4_SSO0_SVW4_SNLL0_TT1_96_TLDS1_UMLDSA0_UMLDSB1_USFGROn1_VAW1_VSn1_VW1_VWB1_VFLRP0_WSGRA1_WSGRB1_WG128_2_1_WGM15
  .amdhsa_user_sgpr_kernarg_segment_ptr 1
  .amdhsa_user_sgpr_kernarg_preload_offset 0
  .amdhsa_user_sgpr_kernarg_preload_length 0
  .amdhsa_user_sgpr_count 2
  .amdhsa_accum_offset 256 // accvgpr offset
  .amdhsa_next_free_vgpr 304 // vgprs
  .amdhsa_next_free_sgpr 68 // sgprs
  .amdhsa_group_segment_fixed_size 62976 // lds bytes
  .amdhsa_private_segment_fixed_size 0
  .amdhsa_system_sgpr_workgroup_id_x 1
  .amdhsa_system_sgpr_workgroup_id_y 1
  .amdhsa_system_sgpr_workgroup_id_z 1
  .amdhsa_system_vgpr_workitem_id 0
  .amdhsa_float_denorm_mode_32 3
  .amdhsa_float_denorm_mode_16_64 3
.end_amdhsa_kernel
.text

/******************************************/
/* Optimizations and Config:              */
/******************************************/
/* ThreadTile= 16 x 3 */
/* SubGroup= 8 x 32 */
/* VectorWidthA=1 */
/* VectorWidthB=1 */
/* GlobalLoadVectorWidthA=16, GlobalLoadVectorWidthB=16 */
/* DirectToLdsA=False */
/* DirectToLdsB=False */
/* UseSgprForGRO=False */
.amdgpu_metadata
---
amdhsa.version:
  - 1
  - 1
amdhsa.target: amdgcn-amd-amdhsa--gfx90a
amdhsa.kernels:
  - .name: Cijk_Ailk_Bljk_I8II_BH_GB_MT128x96x128_MI32x32x8x1_SE_1LDSB0_APM1_AF0EM8_AF1EM1_AMAS0_ASGT_ASLT_ASAE01_ASCE01_ASEM1_BL1_BS1_CLR0_DTLA0_DTLB0_DTVA0_DVO0_EPS1_FL0_GLVWA16_GLVWB16_GRVW16_GSU1_GSUASB_GLS0_ISA90a_IU1_K1_KLA_LBSPPA0_LBSPPB128_LPA0_LPB16_LDL1_LRVW16_LDW0_FMA_MIAV0_MMFGLC_NTA0_NTB0_NTC0_NTD0_NEPBS0_NLCA1_NLCB1_ONLL1_OPLV0_PK0_PAP0_PGR1_PLR17_SIA3_SS0_SU0_SUM0_SUS0_SCIUI1_SPO0_SRVW4_SSO0_SVW4_SNLL0_TT1_96_TLDS1_UMLDSA0_UMLDSB1_USFGROn1_VAW1_VSn1_VW1_VWB1_VFLRP0_WSGRA1_WSGRB1_WG128_2_1_WGM15
    .symbol: 'Cijk_Ailk_Bljk_I8II_BH_GB_MT128x96x128_MI32x32x8x1_SE_1LDSB0_APM1_AF0EM8_AF1EM1_AMAS0_ASGT_ASLT_ASAE01_ASCE01_ASEM1_BL1_BS1_CLR0_DTLA0_DTLB0_DTVA0_DVO0_EPS1_FL0_GLVWA16_GLVWB16_GRVW16_GSU1_GSUASB_GLS0_ISA90a_IU1_K1_KLA_LBSPPA0_LBSPPB128_LPA0_LPB16_LDL1_LRVW16_LDW0_FMA_MIAV0_MMFGLC_NTA0_NTB0_NTC0_NTD0_NEPBS0_NLCA1_NLCB1_ONLL1_OPLV0_PK0_PAP0_PGR1_PLR17_SIA3_SS0_SU0_SUM0_SUS0_SCIUI1_SPO0_SRVW4_SSO0_SVW4_SNLL0_TT1_96_TLDS1_UMLDSA0_UMLDSB1_USFGROn1_VAW1_VSn1_VW1_VWB1_VFLRP0_WSGRA1_WSGRB1_WG128_2_1_WGM15.kd'
    .language:                   OpenCL C
    .language_version:
      - 2
      - 0
    .args:
      - .name:            Tensor2dSizeA
        .size:            8
        .offset:          0
        .value_kind:      by_value
        .value_type:      u64
      - .name:            Tensor2dSizeB
        .size:            8
        .offset:          8
        .value_kind:      by_value
        .value_type:      u64
      - .name:            AddressD
        .size:            8
        .offset:          16
        .value_kind:      by_value
        .value_type:      u64
      - .name:            AddressC
        .size:            8
        .offset:          24
        .value_kind:      by_value
        .value_type:      u64
      - .name:            AddressA
        .size:            8
        .offset:          32
        .value_kind:      by_value
        .value_type:      u64
      - .name:            AddressB
        .size:            8
        .offset:          40
        .value_kind:      by_value
        .value_type:      u64
      - .name:            OffsetD
        .size:            8
        .offset:          48
        .value_kind:      by_value
        .value_type:      u64
      - .name:            OffsetC
        .size:            8
        .offset:          56
        .value_kind:      by_value
        .value_type:      u64
      - .name:            OffsetA
        .size:            8
        .offset:          64
        .value_kind:      by_value
        .value_type:      u64
      - .name:            OffsetB
        .size:            8
        .offset:          72
        .value_kind:      by_value
        .value_type:      u64
      - .name:            Alpha
        .size:            4
        .offset:          80
        .value_kind:      by_value
        .value_type:      u32
      - .name:            Beta
        .size:            4
        .offset:          84
        .value_kind:      by_value
        .value_type:      u32
      - .name:            StridesD
        .size:            8
        .offset:          88
        .value_kind:      by_value
        .value_type:      u64
      - .name:            StridesC
        .size:            8
        .offset:          96
        .value_kind:      by_value
        .value_type:      u64
      - .name:            StridesA
        .size:            8
        .offset:          104
        .value_kind:      by_value
        .value_type:      u64
      - .name:            StridesB
        .size:            8
        .offset:          112
        .value_kind:      by_value
        .value_type:      u64
      - .name:            SizesFree
        .size:            12
        .offset:          120
        .value_kind:      by_value
        .value_type:      u96
      - .name:            SizesSum
        .size:            4
        .offset:          132
        .value_kind:      by_value
        .value_type:      u32
      - .name:            NumWorkGroups0
        .size:            4
        .offset:          136
        .value_kind:      by_value
        .value_type:      u32
      - .name:            NumWorkGroups1
        .size:            4
        .offset:          140
        .value_kind:      by_value
        .value_type:      u32
      - .name:            NumFullBlocks
        .size:            4
        .offset:          144
        .value_kind:      by_value
        .value_type:      u32
      - .name:            WgmRemainder1
        .size:            4
        .offset:          148
        .value_kind:      by_value
        .value_type:      u32
      - .name:            MagicNumberWgmRemainder1
        .size:            4
        .offset:          152
        .value_kind:      by_value
        .value_type:      u32
    .group_segment_fixed_size:   62976
    .kernarg_segment_align:      8
    .kernarg_segment_size:       160
    .max_flat_workgroup_size:    256
    .private_segment_fixed_size: 0
    .sgpr_count:                 68
    .sgpr_spill_count:           0
    .vgpr_count:                 256
    .vgpr_spill_count:           0
    .wavefront_size:             64
...
.end_amdgpu_metadata
Cijk_Ailk_Bljk_I8II_BH_GB_MT128x96x128_MI32x32x8x1_SE_1LDSB0_APM1_AF0EM8_AF1EM1_AMAS0_ASGT_ASLT_ASAE01_ASCE01_ASEM1_BL1_BS1_CLR0_DTLA0_DTLB0_DTVA0_DVO0_EPS1_FL0_GLVWA16_GLVWB16_GRVW16_GSU1_GSUASB_GLS0_ISA90a_IU1_K1_KLA_LBSPPA0_LBSPPB128_LPA0_LPB16_LDL1_LRVW16_LDW0_FMA_MIAV0_MMFGLC_NTA0_NTB0_NTC0_NTD0_NEPBS0_NLCA1_NLCB1_ONLL1_OPLV0_PK0_PAP0_PGR1_PLR17_SIA3_SS0_SU0_SUM0_SUS0_SCIUI1_SPO0_SRVW4_SSO0_SVW4_SNLL0_TT1_96_TLDS1_UMLDSA0_UMLDSB1_USFGROn1_VAW1_VSn1_VW1_VWB1_VFLRP0_WSGRA1_WSGRB1_WG128_2_1_WGM15:

/******************************************/
/* Asm syntax workarounds                 */
/******************************************/
.macro _v_add_co_u32 dst:req, cc:req, src0:req, src1:req, dpp=
   v_add_co_u32 \dst, \cc, \src0, \src1 \dpp
.endm

.macro _v_add_u32 dst:req, src0:req, src1:req, dpp=
   v_add_u32 \dst, \src0, \src1 \dpp
.endm

.macro _v_add_i32 dst:req, src0:req, src1:req, dpp=
   v_add_i32 \dst, \src0, \src1 \dpp
.endm

.macro _v_addc_co_u32 dst:req, ccOut:req, src0:req, ccIn:req, src1:req, dpp=
   v_addc_co_u32 \dst, \ccOut, \src0, \ccIn, \src1 \dpp
.endm

.macro _v_sub_co_u32 dst:req, cc:req, src0:req, src1:req, dpp=
   v_sub_co_u32 \dst, \cc, \src0, \src1 \dpp
.endm

.macro _v_sub_u32 dst:req, src0:req, src1:req, dpp=
   v_sub_u32 \dst, \src0, \src1 \dpp
.endm

.macro _v_sub_i32 dst:req, src0:req, src1:req, dpp=
   v_sub_i32 \dst, \src0, \src1 \dpp
.endm

.macro _v_add_lshl_u32 dst:req, src0:req, src1:req, shiftCnt:req
    v_add_lshl_u32 \dst, \src0, \src1, \shiftCnt
.endm

.macro _v_lshl_add_u32 dst:req, src0:req, src1:req, shiftCnt:req
    v_lshl_add_u32 \dst, \src0, \src1, \shiftCnt
.endm

.macro _v_lshl_or_b32 dst:req, src0:req, shiftCnt:req, src1:req
    v_lshl_or_b32 \dst, \src0, \shiftCnt, \src1
.endm

.macro _v_dot2acc_f32_f16 dst, src0, src1
v_dot2c_f32_f16 \dst, \src0, \src1
.endm

.macro _v_cmpx_lt_i16 dst, src0, src1=
   v_cmpx_lt_i16 \dst, \src0, \src1 
.endm

.macro _v_cmpx_lt_i32 dst, src0, src1=
   v_cmpx_lt_i32 \dst, \src0, \src1 
.endm

.macro _v_cmpx_lt_i64 dst, src0, src1=
   v_cmpx_lt_i64 \dst, \src0, \src1 
.endm

.macro _v_cmpx_lt_u16 dst, src0, src1=
   v_cmpx_lt_u16 \dst, \src0, \src1 
.endm

.macro _v_cmpx_lt_u32 dst, src0, src1=
   v_cmpx_lt_u32 \dst, \src0, \src1 
.endm

.macro _v_cmpx_lt_u64 dst, src0, src1=
   v_cmpx_lt_u64 \dst, \src0, \src1 
.endm

.macro _v_cmpx_eq_i16 dst, src0, src1=
   v_cmpx_eq_i16 \dst, \src0, \src1 
.endm

.macro _v_cmpx_eq_i32 dst, src0, src1=
   v_cmpx_eq_i32 \dst, \src0, \src1 
.endm

.macro _v_cmpx_eq_i64 dst, src0, src1=
   v_cmpx_eq_i64 \dst, \src0, \src1 
.endm

.macro _v_cmpx_eq_u16 dst, src0, src1=
   v_cmpx_eq_u16 \dst, \src0, \src1 
.endm

.macro _v_cmpx_eq_u32 dst, src0, src1=
   v_cmpx_eq_u32 \dst, \src0, \src1 
.endm

.macro _v_cmpx_eq_u64 dst, src0, src1=
   v_cmpx_eq_u64 \dst, \src0, \src1 
.endm

.macro _v_cmpx_le_i16 dst, src0, src1=
   v_cmpx_le_i16 \dst, \src0, \src1 
.endm

.macro _v_cmpx_le_i32 dst, src0, src1=
   v_cmpx_le_i32 \dst, \src0, \src1 
.endm

.macro _v_cmpx_le_i64 dst, src0, src1=
   v_cmpx_le_i64 \dst, \src0, \src1 
.endm

.macro _v_cmpx_le_u16 dst, src0, src1=
   v_cmpx_le_u16 \dst, \src0, \src1 
.endm

.macro _v_cmpx_le_u32 dst, src0, src1=
   v_cmpx_le_u32 \dst, \src0, \src1 
.endm

.macro _v_cmpx_le_u64 dst, src0, src1=
   v_cmpx_le_u64 \dst, \src0, \src1 
.endm

.macro _v_cmpx_gt_i16 dst, src0, src1=
   v_cmpx_gt_i16 \dst, \src0, \src1 
.endm

.macro _v_cmpx_gt_i32 dst, src0, src1=
   v_cmpx_gt_i32 \dst, \src0, \src1 
.endm

.macro _v_cmpx_gt_i64 dst, src0, src1=
   v_cmpx_gt_i64 \dst, \src0, \src1 
.endm

.macro _v_cmpx_gt_u16 dst, src0, src1=
   v_cmpx_gt_u16 \dst, \src0, \src1 
.endm

.macro _v_cmpx_gt_u32 dst, src0, src1=
   v_cmpx_gt_u32 \dst, \src0, \src1 
.endm

.macro _v_cmpx_gt_u64 dst, src0, src1=
   v_cmpx_gt_u64 \dst, \src0, \src1 
.endm

.macro _v_cmpx_ne_i16 dst, src0, src1=
   v_cmpx_ne_i16 \dst, \src0, \src1 
.endm

.macro _v_cmpx_ne_i32 dst, src0, src1=
   v_cmpx_ne_i32 \dst, \src0, \src1 
.endm

.macro _v_cmpx_ne_i64 dst, src0, src1=
   v_cmpx_ne_i64 \dst, \src0, \src1 
.endm

.macro _v_cmpx_ne_u16 dst, src0, src1=
   v_cmpx_ne_u16 \dst, \src0, \src1 
.endm

.macro _v_cmpx_ne_u32 dst, src0, src1=
   v_cmpx_ne_u32 \dst, \src0, \src1 
.endm

.macro _v_cmpx_ne_u64 dst, src0, src1=
   v_cmpx_ne_u64 \dst, \src0, \src1 
.endm

.macro _v_cmpx_lg_i16 dst, src0, src1=
   v_cmpx_lg_i16 \dst, \src0, \src1 
.endm

.macro _v_cmpx_lg_i32 dst, src0, src1=
   v_cmpx_lg_i32 \dst, \src0, \src1 
.endm

.macro _v_cmpx_lg_i64 dst, src0, src1=
   v_cmpx_lg_i64 \dst, \src0, \src1 
.endm

.macro _v_cmpx_lg_u16 dst, src0, src1=
   v_cmpx_lg_u16 \dst, \src0, \src1 
.endm

.macro _v_cmpx_lg_u32 dst, src0, src1=
   v_cmpx_lg_u32 \dst, \src0, \src1 
.endm

.macro _v_cmpx_lg_u64 dst, src0, src1=
   v_cmpx_lg_u64 \dst, \src0, \src1 
.endm

.macro _v_cmpx_ge_i16 dst, src0, src1=
   v_cmpx_ge_i16 \dst, \src0, \src1 
.endm

.macro _v_cmpx_ge_i32 dst, src0, src1=
   v_cmpx_ge_i32 \dst, \src0, \src1 
.endm

.macro _v_cmpx_ge_i64 dst, src0, src1=
   v_cmpx_ge_i64 \dst, \src0, \src1 
.endm

.macro _v_cmpx_ge_u16 dst, src0, src1=
   v_cmpx_ge_u16 \dst, \src0, \src1 
.endm

.macro _v_cmpx_ge_u32 dst, src0, src1=
   v_cmpx_ge_u32 \dst, \src0, \src1 
.endm

.macro _v_cmpx_ge_u64 dst, src0, src1=
   v_cmpx_ge_u64 \dst, \src0, \src1 
.endm

.macro _v_cmpx_o_i16 dst, src0, src1=
   v_cmpx_o_i16 \dst, \src0, \src1 
.endm

.macro _v_cmpx_o_i32 dst, src0, src1=
   v_cmpx_o_i32 \dst, \src0, \src1 
.endm

.macro _v_cmpx_o_i64 dst, src0, src1=
   v_cmpx_o_i64 \dst, \src0, \src1 
.endm

.macro _v_cmpx_o_u16 dst, src0, src1=
   v_cmpx_o_u16 \dst, \src0, \src1 
.endm

.macro _v_cmpx_o_u32 dst, src0, src1=
   v_cmpx_o_u32 \dst, \src0, \src1 
.endm

.macro _v_cmpx_o_u64 dst, src0, src1=
   v_cmpx_o_u64 \dst, \src0, \src1 
.endm

.macro _v_cmpx_u_i16 dst, src0, src1=
   v_cmpx_u_i16 \dst, \src0, \src1 
.endm

.macro _v_cmpx_u_i32 dst, src0, src1=
   v_cmpx_u_i32 \dst, \src0, \src1 
.endm

.macro _v_cmpx_u_i64 dst, src0, src1=
   v_cmpx_u_i64 \dst, \src0, \src1 
.endm

.macro _v_cmpx_u_u16 dst, src0, src1=
   v_cmpx_u_u16 \dst, \src0, \src1 
.endm

.macro _v_cmpx_u_u32 dst, src0, src1=
   v_cmpx_u_u32 \dst, \src0, \src1 
.endm

.macro _v_cmpx_u_u64 dst, src0, src1=
   v_cmpx_u_u64 \dst, \src0, \src1 
.endm
.macro _v_mac_f32 c:req, a:req, b:req
    v_fmac_f32 \c, \a, \b
.endmacro

/* scale global load macros */
.macro _s_load_b32 dst base offset
    s_load_dword \dst \base \offset
.endm

.macro _s_load_b64 dst base offset
    s_load_dwordx2 \dst \base \offset
.endm

.macro _s_load_b128 dst base offset
    s_load_dwordx4 \dst \base \offset
.endm

.macro _s_load_b256 dst base offset
    s_load_dwordx8 \dst \base \offset
.endm

.macro _s_load_b512 dst base offset
    s_load_dwordx16 \dst \base \offset
.endm


/* ds operation macros */
.macro _ds_load_u8 dst src offset
    ds_read_u8 \dst \src \offset
.endm

.macro _ds_load_u8_d16_hi dst src offset
    ds_read_u8_d16_hi \dst \src \offset
.endm

.macro _ds_load_u16 dst src offset
    ds_read_u16 \dst \src \offset
.endm

.macro _ds_load_u16_d16_hi dst src offset
    ds_read_u16_d16_hi \dst \src \offset
.endm

.macro _ds_load_b32 dst src offset
    ds_read_b32 \dst \src \offset
.endm

.macro _ds_load_b64 dst src offset
    ds_read_b64 \dst \src \offset
.endm

.macro _ds_load_b128 dst src offset
    ds_read_b128 \dst \src \offset
.endm

.macro _ds_store_b8 dst src offset
    ds_write_b8 \dst \src \offset
.endm

.macro _ds_store_b8_d16_hi dst src offset
    ds_write_b8_d16_hi \dst \src \offset
.endm

.macro _ds_store_b16 dst src offset
    ds_write_b16 \dst \src \offset
.endm

.macro _ds_store_b16_d16_hi dst src offset
    ds_write_b16_d16_hi \dst \src \offset
.endm

.macro _ds_store_b32 dst src offset
    ds_write_b32 \dst \src \offset
.endm

.macro _ds_store_b64 dst src offset
    ds_write_b64 \dst \src \offset
.endm

.macro _ds_store_b128 dst src offset
    ds_write_b128 \dst \src \offset
.endm

.macro _ds_load2_b32 dst src offset1 offset2
    ds_read2_b32 \dst \src \offset1 \offset2
.endm

.macro _ds_load2_b64 dst src offset1 offset2
    ds_read2_b64 \dst \src \offset1 \offset2
.endm

.macro _ds_store2_b32 dst src offset1 offset2
    ds_write2_b32 \dst \src \offset1 \offset2
.endm

.macro _ds_store2_b64 dst src offset1 offset2
    ds_write2_b64 \dst \src \offset1 \offset2
.endm


/* buffer memory operation macros */
.macro _buffer_load_b32 dst voffset base soffset offen ioffset md0 md1 md2
    buffer_load_dword \dst \voffset \base \soffset \offen \ioffset \md0 \md1 \md2
.endm

.macro _buffer_load_b64 dst voffset base soffset offen ioffset md0 md1 md2
    buffer_load_dwordx2 \dst \voffset \base \soffset \offen \ioffset \md0 \md1 \md2
.endm

.macro _buffer_load_b96 dst voffset base soffset offen ioffset md0 md1 md2
    buffer_load_dwordx3 \dst \voffset \base \soffset \offen \ioffset \md0 \md1 \md2
.endm

.macro _buffer_load_b128 dst voffset base soffset offen ioffset md0 md1 md2
    buffer_load_dwordx4 \dst \voffset \base \soffset \offen \ioffset \md0 \md1 \md2
.endm

.macro _buffer_load_d16_b16 dst voffset base soffset offen ioffset md0 md1 md2
    buffer_load_short_d16 \dst \voffset \base \soffset \offen \ioffset \md0 \md1 \md2
.endm

.macro _buffer_load_d16_hi_b16 dst voffset base soffset offen ioffset md0 md1 md2
    buffer_load_short_d16_hi \dst \voffset \base \soffset \offen \ioffset \md0 \md1 \md2
.endm

.macro _buffer_load_d16_u8 dst voffset base soffset offen ioffset md0 md1 md2
    buffer_load_ubyte_d16 \dst \voffset \base \soffset \offen \ioffset \md0 \md1 \md2
.endm

.macro _buffer_load_d16_hi_u8 dst voffset base soffset offen ioffset md0 md1 md2
    buffer_load_ubyte_d16_hi \dst \voffset \base \soffset \offen \ioffset \md0 \md1 \md2
.endm

.macro _buffer_load_u16 dst voffset base soffset offen ioffset md0 md1 md2
    buffer_load_ushort \dst \voffset \base \soffset \offen \ioffset \md0 \md1 \md2
.endm

.macro _buffer_load_b32_dtl voffset base soffset offen ioffset md0 md1 md2
    buffer_load_dword \voffset \base \soffset \offen \ioffset \md0 \md1 \md2
.endm

.macro _buffer_load_b64_dtl voffset base soffset offen ioffset md0 md1 md2
    buffer_load_dwordx2 \voffset \base \soffset \offen \ioffset \md0 \md1 \md2
.endm

.macro _buffer_load_b128_dtl voffset base soffset offen ioffset md0 md1 md2
    buffer_load_dwordx4 \voffset \base \soffset \offen \ioffset \md0 \md1 \md2
.endm

.macro _buffer_load_u16_dtl voffset base soffset offen ioffset md0 md1 md2
    buffer_load_ushort \voffset \base \soffset \offen \ioffset \md0 \md1 \md2
.endm

.macro _buffer_store_b32 src voffset base soffset offen ioffset md0 md1 md2
    buffer_store_dword \src \voffset \base \soffset \offen \ioffset \md0 \md1 \md2
.endm

.macro _buffer_store_b64 src voffset base soffset offen ioffset md0 md1 md2
    buffer_store_dwordx2 \src \voffset \base \soffset \offen \ioffset \md0 \md1 \md2
.endm

.macro _buffer_store_b96 src voffset base soffset offen ioffset md0 md1 md2
    buffer_store_dwordx3 \src \voffset \base \soffset \offen \ioffset \md0 \md1 \md2
.endm

.macro _buffer_store_b128 src voffset base soffset offen ioffset md0 md1 md2
    buffer_store_dwordx4 \src \voffset \base \soffset \offen \ioffset \md0 \md1 \md2
.endm

.macro _buffer_store_b16 src voffset base soffset offen ioffset md0 md1 md2
    buffer_store_short \src \voffset \base \soffset \offen \ioffset \md0 \md1 \md2
.endm

.macro _buffer_store_d16_hi_b16 src voffset base soffset offen ioffset md0 md1 md2
    buffer_store_short_d16_hi \src \voffset \base \soffset \offen \ioffset \md0 \md1 \md2
.endm

.macro _buffer_store_b8 src voffset base soffset offen ioffset md0 md1 md2
    buffer_store_byte \src \voffset \base \soffset \offen \ioffset \md0 \md1 \md2
.endm

.macro _buffer_store_d16_hi_b8 src voffset base soffset offen ioffset md0 md1 md2
    buffer_store_byte_d16_hi \src \voffset \base \soffset \offen \ioffset \md0 \md1 \md2
.endm

.macro _buffer_atomic_cmpswap_b32 dst voffset base soffset offen ioffset md0 md1 md2
    buffer_atomic_cmpswap \dst \voffset \base \soffset \offen \ioffset \md0 \md1 \md2
.endm

.macro _buffer_atomic_cmpswap_b64 dst voffset base soffset offen ioffset md0 md1 md2
    buffer_atomic_cmpswap_x2 \dst \voffset \base \soffset \offen \ioffset \md0 \md1 \md2
.endm


/* buffer memory operation macros */
.macro _global_load_b32 dst base src ioffset md0 md1 md2
    global_load_dword \dst \base \src \ioffset \md0 \md1 \md2
.endm

.macro _global_load_b64 dst base src ioffset md0 md1 md2
    global_load_dwordx2 \dst \base \src \ioffset \md0 \md1 \md2
.endm

.macro _global_load_b96 dst base src ioffset md0 md1 md2
    global_load_dwordx3 \dst \base \src \ioffset \md0 \md1 \md2
.endm

.macro _global_load_b128 dst base src ioffset md0 md1 md2
    global_load_dwordx4 \dst \base \src \ioffset \md0 \md1 \md2
.endm

.macro _global_load_d16_b16 dst base src ioffset md0 md1 md2
    global_load_short_d16 \dst \base \src \ioffset \md0 \md1 \md2
.endm

.macro _global_load_d16_hi_b16 dst base src ioffset md0 md1 md2
    global_load_short_d16_hi \dst \base \src \ioffset \md0 \md1 \md2
.endm

.macro _global_load_d16_u8 dst base src ioffset md0 md1 md2
    global_load_ubyte_d16 \dst \base \src \ioffset \md0 \md1 \md2
.endm

.macro _global_load_d16_hi_u8 dst base src ioffset md0 md1 md2
    global_load_ubyte_d16_hi \dst \base \src \ioffset \md0 \md1 \md2
.endm

.macro _global_load_u16 dst base src ioffset md0 md1 md2
    global_load_ushort \dst \base \src \ioffset \md0 \md1 \md2
.endm

.macro _global_store_b32 base src src2 md0 md1 md2
    global_store_dword \base \src \src2 \md0 \md1 \md2
.endm

.macro _global_store_b64 base src src2 md0 md1 md2
    global_store_dwordx2 \base \src \src2 \md0 \md1 \md2
.endm

.macro _global_store_b96 base src src2 md0 md1 md2
    global_store_dwordx3 \base \src \src2 \md0 \md1 \md2
.endm

.macro _global_store_b128 base src src2 md0 md1 md2
    global_store_dwordx4 \base \src \src2 \md0 \md1 \md2
.endm

.macro _global_store_d16_b16 base src src2 md0 md1 md2
    global_store_short \base \src \src2 \md0 \md1 \md2
.endm

.macro _global_store_d16_hi_b16 base src src2 md0 md1 md2
    global_store_short_d16_hi \base \src \src2 \md0 \md1 \md2
.endm

.macro _global_store_d16_u8 base src src2 md0 md1 md2
    global_store_ubyte_d16 \base \src \src2 \md0 \md1 \md2
.endm

.macro _global_store_d16_hi_u8 base src src2 md0 md1 md2
    global_store_ubyte_d16_hi \base \src \src2 \md0 \md1 \md2
.endm

.macro _global_store_u16 base src src2 md0 md1 md2
    global_store_ushort \base \src \src2 \md0 \md1 \md2
.endm

.macro _global_atomic_cmpswap_b32 tmp base data src ioffset md
    global_atomic_cmpswap \tmp \base \data \src \ioffset \md
.endm

.macro _global_atomic_cmpswap_b64 tmp base data src ioffset md
    global_atomic_cmpswap_x2 \tmp \base \data \src \ioffset \md
.endm


/******************************************/
/* Magic div and mod functions            */
/******************************************/
.macro V_MAGIC_DIV dstIdx:req, dividend:req, magicNumber:req, magicShift:req, magicA:req
    v_mul_hi_u32 v[\dstIdx+1], \dividend, \magicNumber
    v_mul_lo_u32 v[\dstIdx+0], \dividend, \magicA
    _v_add_u32 v[\dstIdx+0], v[\dstIdx+0], v[\dstIdx+1]
    v_lshrrev_b32 v[\dstIdx+0], \magicShift, v[\dstIdx+0]
.endm

/******************************************/
/* VGPR Assignments                       */
/******************************************/
/* ValuC range: [0-0), serializedStore enabled */
.set vgprValuC, 0
/* ValuA/B   Xn=PLR buffer idx,  In=InnerUnroll idx */
.set vgprValuA_X0_I0, 0
.set vgprValuA_X1_I0, 1
.set vgprValuA_X2_I0, 2
.set vgprValuA_X3_I0, 3
.set vgprValuA_X4_I0, 4
.set vgprValuA_X5_I0, 5
.set vgprValuA_X6_I0, 6
.set vgprValuA_X7_I0, 7
.set vgprValuA_X8_I0, 8
.set vgprValuA_X9_I0, 9
.set vgprValuA_X10_I0, 10
.set vgprValuA_X11_I0, 11
.set vgprValuA_X12_I0, 12
.set vgprValuA_X13_I0, 13
.set vgprValuA_X14_I0, 14
.set vgprValuA_X15_I0, 15
.set vgprG2LA, 74
.set vgprValuB_X0_I0, 16
.set vgprValuB_X1_I0, 19
.set vgprValuB_X2_I0, 22
.set vgprValuB_X3_I0, 25
.set vgprValuB_X4_I0, 28
.set vgprValuB_X5_I0, 31
.set vgprValuB_X6_I0, 34
.set vgprValuB_X7_I0, 37
.set vgprValuB_X8_I0, 40
.set vgprValuB_X9_I0, 43
.set vgprValuB_X10_I0, 46
.set vgprValuB_X11_I0, 49
.set vgprValuB_X12_I0, 52
.set vgprValuB_X13_I0, 55
.set vgprValuB_X14_I0, 58
.set vgprValuB_X15_I0, 61
.set vgprG2LB, 90
.set vgprLocalWriteAddrA, 64
.set vgprLocalWriteAddrB, 65
.set vgprGlobalReadOffsetA, 66
.set vgprGlobalReadOffsetB, 70
.set vgprLocalReadAddrA, 102
.set vgprLocalReadAddrB, 103
.set vgprSerial, 104
/* Num VGPR=256 */
/* Num AccVGPR=48 */

/******************************************/
/* SGPR Assignments                       */
/******************************************/
.set sgprKernArgAddress, 0 // (2)
.set sgprWorkGroup0, 2 // (1)
.set sgprWorkGroup1, 3 // (1)
.set sgprWorkGroup2, 4 // (1)
.set sgprLoopCounterL, 5 // (1)
.set sgprOrigLoopCounter, 6 // (1)
.set sgprSrdA, 8 // (4)
.set sgprSrdB, 12 // (4)
.set sgprSrdD, 16 // (4)
.set sgprSrdC, 20 // (4)
.set sgprTensor2dSizeA, 24 // (2)
.set sgprTensor2dSizeB, 26 // (2)
.set sgprAddressD, 28 // (2)
.set sgprAddressC, 30 // (2)
.set sgprAddressA, 32 // (2)
.set sgprAddressB, 34 // (2)
.set sgprOffsetD, 36 // (2)
.set sgprOffsetC, 38 // (2)
.set sgprOffsetA, 40 // (2)
.set sgprOffsetB, 42 // (2)
.set sgprAlpha, 44 // (1)
.set sgprBeta, 45 // (1)
.set sgprStridesD, 46 // (2)
.set sgprStridesC, 48 // (2)
.set sgprStridesA, 50 // (2)
.set sgprStridesB, 52 // (2)
.set sgprSizesFree, 54 // (3)
.set sgprSizesSum, 57 // (1)
.set sgprNumWorkGroups0, 58 // (1)
.set sgprNumWorkGroups1, 59 // (1)
.set sgprNumFullBlocks, 60 // (1)
.set sgprWgmRemainder1, 61 // (1)
.set sgprMagicNumberWgmRemainder1, 62 // (1)
.set sgprShadowLimitA, 28 // (2)
.set sgprShadowLimitB, 30 // (2)
.set sgprGlobalReadIncsA, 7 // (1)
.set sgprGlobalReadIncsB, 32 // (1)
/* max SGPR=68 */

/* Size Assignments */
.set sgprSizeI, sgprSizesFree+0
.set sgprSizeJ, sgprSizesFree+1
.set sgprSizeK, sgprSizesFree+2
.set sgprSizeL, sgprSizesSum+0

/* Stride Assignments */
.set constStrideD0I, 1
.set sgprStrideD1J, sgprStridesD+0
.set sgprStrideDK, sgprStridesD+1
.set constStrideC0I, 1
.set sgprStrideC1J, sgprStridesC+0
.set sgprStrideCK, sgprStridesC+1
.set constStrideA0I, 1
.set sgprStrideAL, sgprStridesA+0
.set sgprStrideAK, sgprStridesA+1
.set constStrideBL, 1
.set sgprStrideB1J, sgprStridesB+0
.set sgprStrideBK, sgprStridesB+1

.set MT0, 128
.set MT1, 96
.set DepthU, 128
.set GSU, 1
.set BpeA, 1
.set BpeALog2, 0
.set BpeB, 1
.set BpeBLog2, 0
/* Number of elements to shift-left SRD */
.set SrdShiftLeftA, 16
.set SrdShiftLeftB, 16
/* 2GB limit - set offsets to -1 to exceed this and clamp */
.set BufferLimitA, 0xffffffff
.set BufferLimitB, 0xffffffff
.set BufferOOB, 0xfffff000

/******************************************/
/* Bits 127:96 of SRD.                    */
/* hex: 0x00020000                        */
/* dst_sel_x (3b): 0                      */
/* dst_sel_y (3b): 0                      */
/* dst_sel_z (3b): 0                      */
/* dst_sel_w (3b): 0                      */
/* num_format (3b): 0                     */
/* data_format (4b): 4                    */
/* user_vm_enable (1b): 0                 */
/* user_vm_mode (1b): 0                   */
/* index_stride (2b): 0                   */
/* add_tid_enable (1b): 0                 */
/* _unusedA (3b): 0                       */
/* nv (1b): 0                             */
/* _unusedB (2b): 0                       */
/* type (2b): 0                           */
/******************************************/
.set Srd127_96, 0x00020000

/* Global Offset A */
.macro GLOBAL_OFFSET_A vgprAddr:req vgprOffset0I:req vgprOffsetL:req vgprTmp:req
v_mul_lo_u32 v[\vgprTmp+0], s[sgprStrideAL], v[\vgprOffsetL] // mul d1 lower
_v_add_co_u32 v[\vgprAddr+0], vcc, v[\vgprOffset0I], v[\vgprTmp+0] // accumulate K lower
_v_add_u32 v[\vgprAddr+0], 0x10, v[\vgprAddr+0]    // add prepad for pointer shift
                                                   // offset *= bytes/element (multiplier is 1, do nothing)
.endm

/* Global Offset B */
.macro GLOBAL_OFFSET_B vgprAddr:req vgprOffsetL:req vgprOffset1J:req vgprTmp:req
v_mul_lo_u32 v[\vgprTmp+0], s[sgprStrideB1J], v[\vgprOffset1J] // mul d1 lower
_v_add_co_u32 v[\vgprAddr+0], vcc, v[\vgprOffsetL], v[\vgprTmp+0] // accumulate K lower
_v_add_u32 v[\vgprAddr+0], 0x10, v[\vgprAddr+0]    // add prepad for pointer shift
                                                   // offset *= bytes/element (multiplier is 1, do nothing)
.endm

/******************************************/
/* Dynamic Scalar Divide: vQuotient=vDividend/vDivisor; vRemainder=vDividend%vDivisor; */
/******************************************/
.macro DYNAMIC_VECTOR_DIVIDE vQuotient vRemainder vDividend vDivisor vTmp0 vTmp1 sTmp
v_cvt_f32_u32 v[\vQuotient], v[\vDivisor]          // 
v_rcp_f32 v[\vQuotient], v[\vQuotient]             // 
v_mul_f32 v[\vQuotient], 0x4f800000, v[\vQuotient] // 
v_cvt_u32_f32 v[\vQuotient], v[\vQuotient]         // 
v_mul_lo_u32 v[\vRemainder], v[\vDivisor], v[\vQuotient] // 
v_mul_hi_u32 v[\vTmp0], v[\vDivisor], v[\vQuotient] // 
_v_sub_co_u32 v[\vTmp1], vcc, 0x0, v[\vRemainder]  // 
v_cmp_ne_i32 s[\sTmp:\sTmp+1], 0x0, v[\vTmp0]      // 
v_cndmask_b32 v[\vRemainder], v[\vTmp1], v[\vRemainder], s[\sTmp:\sTmp+1] // 
v_mul_hi_u32 v[\vRemainder], v[\vRemainder], v[\vQuotient] // 
_v_sub_co_u32 v[\vTmp0], vcc, v[\vQuotient], v[\vRemainder] // 
_v_add_co_u32 v[\vQuotient], vcc, v[\vQuotient], v[\vRemainder] // 
v_cndmask_b32 v[\vQuotient], v[\vQuotient], v[\vTmp0], s[\sTmp:\sTmp+1] // 
v_mul_hi_u32 v[\vQuotient], v[\vQuotient], v[\vDividend] // 
v_mul_lo_u32 v[\vRemainder], v[\vQuotient], v[\vDivisor] // 
_v_sub_co_u32 v[\vTmp0], vcc, v[\vDividend], v[\vRemainder] // 
v_cmp_ge_u32 s[\sTmp:\sTmp+1], v[\vDividend], v[\vRemainder] // 
_v_add_co_u32 v[\vRemainder], vcc, 0x1, v[\vQuotient] // 
_v_add_co_u32 v[\vTmp1], vcc, -1, v[\vQuotient]    // 
v_cmp_le_u32 vcc, v[\vDivisor], v[\vTmp0]          // 
s_and_b64 vcc, s[\sTmp:\sTmp+1], vcc               // 
v_cndmask_b32 v[\vQuotient], v[\vQuotient], v[\vRemainder], vcc // 
v_cndmask_b32 v[\vQuotient], v[\vTmp1], v[\vQuotient], s[\sTmp:\sTmp+1] // 
v_cmp_ne_i32 vcc, 0x0, v[\vDivisor]                // 
v_cndmask_b32 v[\vQuotient], -1, v[\vQuotient], vcc // final result
v_mul_lo_u32 v[\vRemainder], v[\vQuotient], v[\vDivisor] // 
_v_sub_co_u32 v[\vRemainder], vcc, v[\vDividend], v[\vRemainder] // final result
.endm


	;; [unrolled: 1-line block ×3, first 2 shown]
/******************************************/
/* Allocate Resources                     */
/******************************************/

Cijk_Ailk_Bljk_I8II_BH_GB_MT128x96x128_MI32x32x8x1_SE_1LDSB0_APM1_AF0EM8_AF1EM1_AMAS0_ASGT_ASLT_ASAE01_ASCE01_ASEM1_BL1_BS1_CLR0_DTLA0_DTLB0_DTVA0_DVO0_EPS1_FL0_GLVWA16_GLVWB16_GRVW16_GSU1_GSUASB_GLS0_ISA90a_IU1_K1_KLA_LBSPPA0_LBSPPB128_LPA0_LPB16_LDL1_LRVW16_LDW0_FMA_MIAV0_MMFGLC_NTA0_NTB0_NTC0_NTD0_NEPBS0_NLCA1_NLCB1_ONLL1_OPLV0_PK0_PAP0_PGR1_PLR17_SIA3_SS0_SU0_SUM0_SUS0_SCIUI1_SPO0_SRVW4_SSO0_SVW4_SNLL0_TT1_96_TLDS1_UMLDSA0_UMLDSB1_USFGROn1_VAW1_VSn1_VW1_VWB1_VFLRP0_WSGRA1_WSGRB1_WG128_2_1_WGM15_preloaded: // Kernel start when preloading

/* Load Kernel Args */
_s_load_b512 s[24:39], s[sgprKernArgAddress:sgprKernArgAddress+1], 0x0 // 
_s_load_b512 s[40:55], s[sgprKernArgAddress:sgprKernArgAddress+1], 0x40 // 
_s_load_b128 s[56:59], s[sgprKernArgAddress:sgprKernArgAddress+1], 0x80 // 
_s_load_b64 s[60:61], s[sgprKernArgAddress:sgprKernArgAddress+1], 0x90 // 
_s_load_b32 s62, s[sgprKernArgAddress:sgprKernArgAddress+1], 0x98 // 
s_mov_b32 m0, 0xf600                               // LDS clamp at 62976 bytes
v_mov_b32 v[vgprSerial], v0                        // thread serial id

/******************************************/
/* Local Read Addresses                   */
/******************************************/


/* local read addresses: tile assignments a/b */

/*lr0I*/
v_and_b32 v1, 63, v[vgprSerial]                    // 0. thread id in wave: wtid = tid % wavelength(64)
v_and_b32 v0, 31, v1                               // 1. N offset: nIdx = wtid % MI_N(32)
                                                   // 1. N offset: nOffset = nIdx * nStride(1) (multiplier is 1, do nothing)
                                                   // 2. block offset: bnIdx = bnIdx % num1DBlocks(1) is 0. do nothing
                                                   // 4. apply VectorWidth: bnOffset = bnOffset * vw(1) (multiplier is 1, do nothing)
v_lshrrev_b32 v1, 5, v1                            // 5. K offset: kIdx = wtid / (MIN(32) * MIBB(1))
v_lshlrev_b32 v1, 0xb, v1                          // 5. K offset: lrKOffset = kIdx * mStride(2048)
_v_add_u32 v0, v1, v0                              // 6. offset in wave: lrOffset = bnOffset + lrKOffset
v_lshrrev_b32 v2, 6, v[vgprSerial]                 // 7. wave offset in N dimen: wtid = tid / dividedForWaveId(64)
v_and_b32 v1, 3, v2                                // 7. wave offset in M dimen: wtid0 = wtid / num1DWaves(4)
v_lshlrev_b32 v1, 0x5, v1                          // 7. wave offset in M dimen: wOffset = wtid0 * W0Stride(32)
_v_add_u32 v0, v1, v0                              // 8. final local read offset: flrOffset = lrOffset + WOffset
/*lr1J*/
v_and_b32 v2, 63, v[vgprSerial]                    // 0. thread id in wave: wtid = tid % wavelength(64)
v_and_b32 v1, 31, v2                               // 1. N offset: nIdx = wtid % MI_N(32)
v_lshlrev_b32 v1, 0x7, v1                          // 1. N offset: nOffset = nIdx * nStride(128)
                                                   // 2. block offset: bnIdx = bnIdx % num1DBlocks(1) is 0. do nothing
                                                   // 4. apply VectorWidth: bnOffset = bnOffset * vw(1) (multiplier is 1, do nothing)
v_lshrrev_b32 v2, 5, v2                            // 5. K offset: kIdx = wtid / (MIN(32) * MIBB(1))
v_lshlrev_b32 v2, 0x4, v2                          // 5. K offset: lrKOffset = kIdx * mStride(16)
_v_add_u32 v1, v2, v1                              // 6. offset in wave: lrOffset = bnOffset + lrKOffset


/* local read addresses: final offsets a */

v_lshlrev_b32 v[vgprLocalReadAddrA], 0x0, v0       // Final Offset: offset = (lro0)*bpe


/* local read addresses: final offsets b */

v_lshlrev_b32 v[vgprLocalReadAddrB], 0x0, v1       // Final Offset: offset = (lro1)*bpe
v_lshrrev_b32 v0, 7, v[vgprLocalReadAddrB]         // Final Offset: padding 16 per block 128
v_lshlrev_b32 v0, 0x4, v0                          // Final Offset: padding 16 per block 128
_v_add_u32 v[vgprLocalReadAddrB], v0, v[vgprLocalReadAddrB] // Final Offset: add padding 16 per block 128


/* local read addresses: declare addresses a */

/* N/A */


/* local read addresses: declare addresses b */

_v_add_co_u32 v[vgprLocalReadAddrB+0], vcc, 0x4000, v[vgprLocalReadAddrB+0] //  += LdsOffsetB (lower)


/* global read addresses: tile offset assignment a */

/* LVCA = 8 */
/* v0 = (local)groA-tile = serial%LVCA (note (wgA*MTA) will be added to SRD) */
/* v1 = groA-unroll = serial/LVCA */
v_and_b32 v2, 63, v[vgprSerial]                    // v2 = v[vgprSerial] % 64
v_lshrrev_b32 v1, 3, v2                            // v1 = v2 / 8
v_and_b32 v0, 7, v2                                // v0 = v2 % 8
v_readfirstlane_b32 s64, v[vgprSerial]             // WaveIdxWavefrontWidth
s_lshr_b32 s64, s64, 0x6                           // WaveId
s_mul_i32 s64, s64, 32                             // Global Read Wave: each wave loads continuous lsp(8)*nrp(4) columns
_v_add_u32 v1, s64, v1                             // Global Read Wave: add back to column index
/* gro-tile *= glvw */
v_lshlrev_b32 v0, 0x4, v0                          // v0 = v0 * 16


/* global read addresses: tile offset assignment b */

/* LVCB = 8 */
/* v2 = (local)groB-tile = serial/LVCB (note (wgB*MTB) will be added to SRD) */
/* v3 = groB-unroll = serial%LVCB */
v_and_b32 v4, 63, v[vgprSerial]                    // v4 = v[vgprSerial] % 64
v_lshrrev_b32 v2, 3, v4                            // v2 = v4 / 8
v_and_b32 v3, 7, v4                                // v3 = v4 % 8
v_readfirstlane_b32 s64, v[vgprSerial]             // WaveIdxWavefrontWidth
s_lshr_b32 s64, s64, 0x6                           // WaveId
s_mul_i32 s64, s64, 24                             // Global Read Wave: each wave loads continuous lsp(8)*nrp(3) columns
_v_add_u32 v2, s64, v2                             // Global Read Wave: add back to column index
/* gro-unroll *= glvw */
v_lshlrev_b32 v3, 0x4, v3                          // v3 = v3 * 16


/******************************************/
/* Local Write Addresses                  */
/******************************************/

/* lwaTileAssignmentA = v0 */

/* lwaTileAssignmentB = v2 */

/* lwaUnrollAssignmentA = v1 */

/* lwaUnrollAssignmentB = v3 */


/* local write addresses: first offset a */

v_mul_u32_u24 v[vgprLocalWriteAddrA], 0x80, v1     // lwAL**(MTA + PAD)
_v_add_lshl_u32 v[vgprLocalWriteAddrA], v0, v[vgprLocalWriteAddrA], 0x0 // lwFOA = (lwAA + lwAL*(MT0I+PAD))*bpe


/* local write addresses: first offset b */

v_mul_u32_u24 v[vgprLocalWriteAddrB], 0x80, v2     // lwBL**(DepthU_Compute + PAD)
_v_add_lshl_u32 v[vgprLocalWriteAddrB], v3, v[vgprLocalWriteAddrB], 0x0 // lwFOB = (lwBB + lwBL*(DepthU+PAD))*bpe
v_lshrrev_b32 v4, 7, v[vgprLocalWriteAddrB]        // padding 16 per block 128
v_lshlrev_b32 v4, 0x4, v4                          // padding 16 per block 128
_v_add_u32 v[vgprLocalWriteAddrB], v4, v[vgprLocalWriteAddrB] // add padding 16 per block 128
_v_add_co_u32 v[vgprLocalWriteAddrB], vcc, 0x4000, v[vgprLocalWriteAddrB] // lwFOB = lwB1J + lwBL*MT1J + LDS_OFFSET_B=16384*1


	;; [unrolled: 1-line block ×7, first 2 shown]
s_waitcnt lgkmcnt(0)                               // wait for 156 bytes of kern args

s_mul_i32 s66, s[sgprWorkGroup2], 8                // offset of global buffer address
_s_load_b64 s[sgprAddressD:sgprAddressD+1], s[sgprAddressD:sgprAddressD+1], s66 // load global buffer D address
s_cmp_eq_u32 s[sgprBeta], 0                        // Beta == 0 ?
s_cbranch_scc1 label_skip_c_buffer_deref_WorkGroup2_10 // branch if beta == 0
s_mul_i32 s66, s[sgprWorkGroup2], 8                // offset of global buffer address
_s_load_b64 s[sgprAddressC:sgprAddressC+1], s[sgprAddressC:sgprAddressC+1], s66 // load global buffer C address
label_skip_c_buffer_deref_WorkGroup2_10: // 
s_mov_b32 s66, 0x1                                 // check summation size
s_mul_i32 s66, s[sgprSizesSum+0], s66              // check summation size
s_cmp_eq_u32 s66, 0x0                              // skip buffer deref is size of summation is 0
s_cbranch_scc1 label_skip_ab_buffer_deref_WorkGroup2_11 // skip buffer deref is size of summation is 0
s_cmp_eq_u32 s[sgprAlpha], 0                       // Alpha == 0 ?
s_cbranch_scc1 label_skip_ab_buffer_deref_WorkGroup2_11 // branch if alpha == 0
s_mul_i32 s66, s[sgprWorkGroup2], 8                // offset of global buffer address
_s_load_b64 s[sgprAddressA:sgprAddressA+1], s[sgprAddressA:sgprAddressA+1], s66 // load global buffer A address
_s_load_b64 s[sgprAddressB:sgprAddressB+1], s[sgprAddressB:sgprAddressB+1], s66 // load global buffer B address
label_skip_ab_buffer_deref_WorkGroup2_11: // 
s_waitcnt lgkmcnt(0)                               // wait global buffer address ready
s_lshl_b64 s[sgprOffsetD:sgprOffsetD+1], s[sgprOffsetD:sgprOffsetD+1], 0x2 // elements offset to bytes offset
s_add_u32 s[sgprSrdD+0], s[sgprAddressD+0], s[sgprOffsetD] // add offset to buffer address
s_addc_u32 s[sgprSrdD+1], s[sgprAddressD+1], s[sgprOffsetD+1] // add offset to buffer address
s_lshl_b64 s[sgprOffsetC:sgprOffsetC+1], s[sgprOffsetC:sgprOffsetC+1], 0x2 // elements offset to bytes offset
s_add_u32 s[sgprSrdC+0], s[sgprAddressC+0], s[sgprOffsetC] // add offset to buffer address
s_addc_u32 s[sgprSrdC+1], s[sgprAddressC+1], s[sgprOffsetC+1] // add offset to buffer address
s_lshl_b64 s[sgprOffsetA:sgprOffsetA+1], s[sgprOffsetA:sgprOffsetA+1], 0x0 // elements offset to bytes offset
s_add_u32 s[sgprSrdA+0], s[sgprAddressA+0], s[sgprOffsetA] // add offset to buffer address
s_addc_u32 s[sgprSrdA+1], s[sgprAddressA+1], s[sgprOffsetA+1] // add offset to buffer address
s_lshl_b64 s[sgprOffsetB:sgprOffsetB+1], s[sgprOffsetB:sgprOffsetB+1], 0x0 // elements offset to bytes offset
s_add_u32 s[sgprSrdB+0], s[sgprAddressB+0], s[sgprOffsetB] // add offset to buffer address
s_addc_u32 s[sgprSrdB+1], s[sgprAddressB+1], s[sgprOffsetB+1] // add offset to buffer address
s_sub_u32 s[sgprSrdA+0], s[sgprSrdA+0], 16         // pre-pad to make room for possible pointer shift
s_subb_u32 s[sgprSrdA+1], s[sgprSrdA+1], 0         // pre-pad to make room for possible pointer shift
s_sub_u32 s[sgprSrdB+0], s[sgprSrdB+0], 16         // pre-pad to make room for possible pointer shift
s_subb_u32 s[sgprSrdB+1], s[sgprSrdB+1], 0         // pre-pad to make room for possible pointer shift

.set OffsetD, UNDEF
.set OffsetC, UNDEF
.set OffsetA, UNDEF
.set OffsetB, UNDEF
.set AddressD, UNDEF
.set AddressC, UNDEF
.set AddressA, UNDEF
.set AddressB, UNDEF

/* Short circuit condition if Alpha == 0, then sumDims=0 */
s_cmp_eq_u32 s[sgprAlpha], 0                       // Alpha == 0 ?
s_cmov_b32 s[sgprSizesSum+0], 0x0                  // Set summation dim=0 if Alpha == 0


	;; [unrolled: 1-line block ×3, first 2 shown]
/******************************************/
/* Begin setupNewTile, isPap=False           */
/******************************************/


/* global read addresses: work-group */

/* graWorkGroup mapping */
s_mov_b32 s37, 0x8888889L                          // magic number for WGM==15
s_mul_hi_u32 s35, s[sgprWorkGroup1], s37           // s_magic mul
s_mul_i32 s34, s[sgprWorkGroup1], s37              // s_magic mul
s_lshr_b64 s[34:35], s[34:35], 31                  // sMagicDiv
s_mul_i32 s35, s34, 15                             // quotient * non-magic divisor
s_sub_u32 s35, s[sgprWorkGroup1], s35              // WorkGroup1=remainder
s_mul_i32 s35, s35, s[sgprNumWorkGroups0]          // (wg1 % WGM)*nwg0
s_add_u32 s35, s35, s[sgprWorkGroup0]              // wgSerial = wg0 + (wg1 % WGM)*nwg1
s_cmp_ge_u32 s34, s[sgprNumFullBlocks]             // blockId >= numFullBlocks ?
s_cmov_b32 s37, s[sgprMagicNumberWgmRemainder1]    // 
s_cselect_b32 s36, s[sgprWgmRemainder1], 15        // 
s_mul_hi_u32 s3, s35, s37                          // s_magic mul
s_mul_i32 s2, s35, s37                             // s_magic mul
s_lshr_b64 s[2:3], s[2:3], 31                      // sMagicDiv
s_mul_i32 s[sgprWorkGroup1], s[sgprWorkGroup0], s36 // quotient * non-magic divisor
s_sub_u32 s[sgprWorkGroup1], s35, s[sgprWorkGroup1] // WorkGroup1=remainder
s_mul_i32 s34, s34, 15                             // blockId * WGM
s_add_u32 s[sgprWorkGroup1], s[sgprWorkGroup1], s34 // wg1 += blockId * WGM


/* global read addresses: unroll assignment a */

/* v1 */


/* global read addresses: unroll assignment b */

/* v3 */


/* global read addresses: other free assignments */

/* s[sgprWorkGroup2] */


/* global read addresses: tile offsets a */

v_mov_b32 v4, v0                                   // groA0I_0


/* global read addresses: tile offsets b */

v_mov_b32 v5, v2                                   // groB1J_0
_v_add_co_u32 v6, vcc, 8, v5                       // groB1J_1 += LSPB
_v_add_co_u32 v7, vcc, 8, v6                       // groB1J_2 += LSPB


/* global read addresses: unroll offsets a */

v_mov_b32 v8, v1                                   // groAL_0
_v_add_co_u32 v9, vcc, 8, v8                       // groAL_1 + LSPA
_v_add_co_u32 v10, vcc, 8, v9                      // groAL_2 + LSPA
_v_add_co_u32 v11, vcc, 8, v10                     // groAL_3 + LSPA


/* global read addresses: unroll offsets b */

v_mov_b32 v12, v3                                  // groBL_0


/* global read addresses: shift a */

s_mul_i32 s33, s[sgprWorkGroup0], 128              // WorkGroup[01] * MT
s_sub_u32 s33, s[sgprSizeI], s33                   // edge = Size0I - WG*MT
s_sub_u32 s33, s33, 16                             // edge -= margin(16)
v_mov_b32 v13, s33                                 // edge vgpr = Size0I- WG*MT - margin(16)
v_min_i32 v4, v13, v4                              // offset = (offset < edge) ? offset(v4) : edge(v13)


/* global read addresses: final offsets a */

GLOBAL_OFFSET_A vgprGlobalReadOffsetA+0,  4,  8, 13 // gROA_0_0_0_0
GLOBAL_OFFSET_A vgprGlobalReadOffsetA+1,  4,  9, 13 // gROA_0_0_1_0
GLOBAL_OFFSET_A vgprGlobalReadOffsetA+2,  4, 10, 13 // gROA_0_0_2_0
GLOBAL_OFFSET_A vgprGlobalReadOffsetA+3,  4, 11, 13 // gROA_0_0_3_0


/* global read addresses: final offsets b */

GLOBAL_OFFSET_B vgprGlobalReadOffsetB+0, 12,  5, 8 // gROB_0_0_0_0
GLOBAL_OFFSET_B vgprGlobalReadOffsetB+1, 12,  6, 8 // gROB_0_0_1_0
GLOBAL_OFFSET_B vgprGlobalReadOffsetB+2, 12,  7, 8 // gROB_0_0_2_0


/* global read addresses: addresses a */

/* max read offset = size[n] * stride[n-1] */
s_mul_hi_u32 s37, s[sgprWorkGroup0], 128           // WorkGroup[01] * MT
s_mul_i32 s36, s[sgprWorkGroup0], 128              // WorkGroup[01] * MT
s_sub_u32 s[sgprShadowLimitA+0], s[sgprTensor2dSizeA], s36 // sub tileStart
s_subb_u32 s[sgprShadowLimitA+1], s[sgprTensor2dSizeA+1], s37 // sub tileStart
s_lshl_b64 s[sgprShadowLimitA:sgprShadowLimitA+1], s[sgprShadowLimitA:sgprShadowLimitA+1], 0x0 // Set limit to use bytes
s_add_u32 s[sgprShadowLimitA+0], s[sgprShadowLimitA+0], 16 // extend limit for pre-pad
s_addc_u32 s[sgprShadowLimitA+1], s[sgprShadowLimitA+1], 0 // extend limit for pre-pad
s_cmp_eq_u32 s[sgprShadowLimitA+1], 0              // are we within 2^32?
s_cselect_b32 s[sgprSrdA+2], s[sgprShadowLimitA+0], BufferLimitA // Move shadow to real if we are within 2^32
                                                   // tileStart *= BPE (multiplier is 1, do nothing)
s_add_u32 s[sgprSrdA+0], s[sgprSrdA+0], s36        // SRD base = Address+ tileStart0
s_addc_u32 s[sgprSrdA+1], s[sgprSrdA+1], s37       // SRD base = Address+ tileStart1
s_mov_b32 s[sgprSrdA+3], Srd127_96                 // Set bits 127_96 in SRD


/* global read addresses: addresses b */

/* max read offset = size[n] * stride[n-1] */
s_mul_hi_u32 s37, s[sgprWorkGroup1], 96            // WorkGroup[01] * MT
s_mul_i32 s36, s[sgprWorkGroup1], 96               // WorkGroup[01] * MT
s_mul_hi_u32 s37, s36, s[sgprStrideB1J]            // tlu=0, scaled tile-offset by stride
s_mul_i32 s36, s36, s[sgprStrideB1J]               // tlu=0, scaled tile-offset by stride
s_sub_u32 s[sgprShadowLimitB+0], s[sgprTensor2dSizeB], s36 // sub tileStart
s_subb_u32 s[sgprShadowLimitB+1], s[sgprTensor2dSizeB+1], s37 // sub tileStart
s_lshl_b64 s[sgprShadowLimitB:sgprShadowLimitB+1], s[sgprShadowLimitB:sgprShadowLimitB+1], 0x0 // Set limit to use bytes
s_add_u32 s[sgprShadowLimitB+0], s[sgprShadowLimitB+0], 16 // extend limit for pre-pad
s_addc_u32 s[sgprShadowLimitB+1], s[sgprShadowLimitB+1], 0 // extend limit for pre-pad
s_cmp_eq_u32 s[sgprShadowLimitB+1], 0              // are we within 2^32?
s_cselect_b32 s[sgprSrdB+2], s[sgprShadowLimitB+0], BufferLimitB // Move shadow to real if we are within 2^32
                                                   // tileStart *= BPE (multiplier is 1, do nothing)
s_add_u32 s[sgprSrdB+0], s[sgprSrdB+0], s36        // SRD base = Address+ tileStart0
s_addc_u32 s[sgprSrdB+1], s[sgprSrdB+1], s37       // SRD base = Address+ tileStart1
s_mov_b32 s[sgprSrdB+3], Srd127_96                 // Set bits 127_96 in SRD


/* global read addresses: increments a */

s_mul_i32 s[sgprGlobalReadIncsA+0], DepthU*BpeA, s[sgprStrideAL] // incrA unrollIdx)


/* global read addresses: increments b */

s_mov_b32 s[sgprGlobalReadIncsB+0], DepthU*BpeB    // incrB (unrollIdx)

/* declare loop num iterations */


s_lshr_b32 s[sgprLoopCounterL], s[sgprSizesSum+0], 7 // s[sgprLoopCounterL] = s[sgprSizesSum+0] / 128
s_mov_b32 s[sgprOrigLoopCounter], s[sgprLoopCounterL] // copy loop counter

/* local read addresses: init pointers a */


/* localReadInitPointers */

/* local read addresses: init pointers b */


/* localReadInitPointers */


/* prefetch: global -> local */

s_cmp_eq_u32 s[sgprLoopCounterL], 0                // at last iteration?
s_cbranch_scc1 ShadowInitStart_12                  // skip to ShadowInitStart iter b/c numIter==0


_buffer_load_b128 v[vgprG2LA+0:vgprG2LA+0+3], v[vgprGlobalReadOffsetA+0], s[sgprSrdA:sgprSrdA+3], 0, offen offset:0 // G -> Reg 0_0_0_0
_buffer_load_b128 v[vgprG2LA+4:vgprG2LA+4+3], v[vgprGlobalReadOffsetA+1], s[sgprSrdA:sgprSrdA+3], 0, offen offset:0 // G -> Reg 0_0_1_0
_buffer_load_b128 v[vgprG2LA+8:vgprG2LA+8+3], v[vgprGlobalReadOffsetA+2], s[sgprSrdA:sgprSrdA+3], 0, offen offset:0 // G -> Reg 0_0_2_0
_buffer_load_b128 v[vgprG2LA+12:vgprG2LA+12+3], v[vgprGlobalReadOffsetA+3], s[sgprSrdA:sgprSrdA+3], 0, offen offset:0 // G -> Reg 0_0_3_0


_buffer_load_b128 v[vgprG2LB+0:vgprG2LB+0+3], v[vgprGlobalReadOffsetB+0], s[sgprSrdB:sgprSrdB+3], 0, offen offset:0 // G -> Reg 0_0_0_0
_buffer_load_b128 v[vgprG2LB+4:vgprG2LB+4+3], v[vgprGlobalReadOffsetB+1], s[sgprSrdB:sgprSrdB+3], 0, offen offset:0 // G -> Reg 0_0_1_0
_buffer_load_b128 v[vgprG2LB+8:vgprG2LB+8+3], v[vgprGlobalReadOffsetB+2], s[sgprSrdB:sgprSrdB+3], 0, offen offset:0 // G -> Reg 0_0_2_0


/* global read inc A loopL */
s_add_u32 s[sgprSrdA+0], s[sgprSrdA+0], s[sgprGlobalReadIncsA+0] // gra SRD += inc(lower)
s_addc_u32  s[sgprSrdA+1], s[sgprSrdA+1], 0        // gra SRD += inc(upper)
s_sub_u32 s[sgprShadowLimitA+0], s[sgprShadowLimitA+0], s[sgprGlobalReadIncsA+0] // limit -= inc)
s_subb_u32 s[sgprShadowLimitA+1], s[sgprShadowLimitA+1], 0 // limit -= inc)
s_cmp_eq_u32 s[sgprShadowLimitA+1], 0              // are we within 2^32?
s_cmov_b32 s[sgprSrdA+2], s[sgprShadowLimitA+0]    // Move shadow to real if we are within 2^32

/* global read inc B loopL */
s_add_u32 s[sgprSrdB+0], s[sgprSrdB+0], s[sgprGlobalReadIncsB+0] // gra SRD += inc(lower)
s_addc_u32  s[sgprSrdB+1], s[sgprSrdB+1], 0        // gra SRD += inc(upper)
s_sub_u32 s[sgprShadowLimitB+0], s[sgprShadowLimitB+0], s[sgprGlobalReadIncsB+0] // limit -= inc)
s_subb_u32 s[sgprShadowLimitB+1], s[sgprShadowLimitB+1], 0 // limit -= inc)
s_cmp_eq_u32 s[sgprShadowLimitB+1], 0              // are we within 2^32?
s_cmov_b32 s[sgprSrdB+2], s[sgprShadowLimitB+0]    // Move shadow to real if we are within 2^32


/******************************************/
/* End setupNewTile, isPap=False             */
/******************************************/

ShadowInitStart_12: // 

s_mov_b32 s[sgprSrdD+2], BufferOOB                 // 
s_mov_b32 s[sgprSrdD+3], Srd127_96                 // Set bits 127_96 in post-loop SRD

s_mov_b32 s[sgprSrdC+2], BufferOOB                 // 
s_mov_b32 s[sgprSrdC+3], Srd127_96                 // Set bits 127_96 in post-loop SRD


s_mul_i32 s36, MT1, s[sgprWorkGroup1]              // <- wg1*MT1
s_mul_hi_u32 s35, s36, s[sgprStrideC1J]            // CScale s36 by Stride
s_mul_i32 s34, s36, s[sgprStrideC1J]               // CScale s36 by Stride
s_lshl_b64 s[34:35], s[34:35], 2                   // scale by bpe
s_add_u32 s[sgprSrdC+0], s[sgprSrdC+0], s34        // add lo to SRD
s_addc_u32 s[sgprSrdC+1], s[sgprSrdC+1], s35       // add hi to SRD
s_mul_hi_u32 s35, s36, s[sgprStrideD1J]            // Scale s36 by Stride
s_mul_i32 s34, s36, s[sgprStrideD1J]               // Scale s36 by Stride
s_lshl_b64 s[34:35], s[34:35], 2                   // scale by bpe
s_add_u32 s[sgprSrdD+0], s[sgprSrdD+0], s34        // add lo to SRD
s_addc_u32 s[sgprSrdD+1], s[sgprSrdD+1], s35       // add hi to SRD


	;; [unrolled: 1-line block ×3, first 2 shown]
/* initC: remove C-tile 0-0 from pool */

/* initC: remove AB-tile 0-64 from pool */
v_accvgpr_write acc0, 0x0                          // initC
v_accvgpr_write acc1, 0x0                          // initC
v_accvgpr_write acc2, 0x0                          // initC
v_accvgpr_write acc3, 0x0                          // initC
v_accvgpr_write acc4, 0x0                          // initC
v_accvgpr_write acc5, 0x0                          // initC
v_accvgpr_write acc6, 0x0                          // initC
v_accvgpr_write acc7, 0x0                          // initC
v_accvgpr_write acc8, 0x0                          // initC
v_accvgpr_write acc9, 0x0                          // initC
v_accvgpr_write acc10, 0x0                         // initC
v_accvgpr_write acc11, 0x0                         // initC
v_accvgpr_write acc12, 0x0                         // initC
v_accvgpr_write acc13, 0x0                         // initC
v_accvgpr_write acc14, 0x0                         // initC
v_accvgpr_write acc15, 0x0                         // initC
v_accvgpr_write acc16, 0x0                         // initC
v_accvgpr_write acc17, 0x0                         // initC
v_accvgpr_write acc18, 0x0                         // initC
v_accvgpr_write acc19, 0x0                         // initC
v_accvgpr_write acc20, 0x0                         // initC
v_accvgpr_write acc21, 0x0                         // initC
v_accvgpr_write acc22, 0x0                         // initC
v_accvgpr_write acc23, 0x0                         // initC
v_accvgpr_write acc24, 0x0                         // initC
v_accvgpr_write acc25, 0x0                         // initC
v_accvgpr_write acc26, 0x0                         // initC
v_accvgpr_write acc27, 0x0                         // initC
v_accvgpr_write acc28, 0x0                         // initC
v_accvgpr_write acc29, 0x0                         // initC
v_accvgpr_write acc30, 0x0                         // initC
v_accvgpr_write acc31, 0x0                         // initC
v_accvgpr_write acc32, 0x0                         // initC
v_accvgpr_write acc33, 0x0                         // initC
v_accvgpr_write acc34, 0x0                         // initC
v_accvgpr_write acc35, 0x0                         // initC
v_accvgpr_write acc36, 0x0                         // initC
v_accvgpr_write acc37, 0x0                         // initC
v_accvgpr_write acc38, 0x0                         // initC
v_accvgpr_write acc39, 0x0                         // initC
v_accvgpr_write acc40, 0x0                         // initC
v_accvgpr_write acc41, 0x0                         // initC
v_accvgpr_write acc42, 0x0                         // initC
v_accvgpr_write acc43, 0x0                         // initC
v_accvgpr_write acc44, 0x0                         // initC
v_accvgpr_write acc45, 0x0                         // initC
v_accvgpr_write acc46, 0x0                         // initC
v_accvgpr_write acc47, 0x0                         // initC

s_cmp_eq_u32 s[sgprLoopCounterL], 0                // at last iteration?

/* after InitC, skip to end of prefetch last iter if numIter==0 */
s_cbranch_scc0 label_NoBranch_13                   // Only branch on scc1
s_getpc_B64 s[34:35]                               // addr of next instr
s_add_i32 s36, PrefetchGlobalLastIterEnd_5, 0x4    // target branch offset
s_add_u32 s34, s34, s36                            // add target branch offset
s_addc_u32 s35, s35, 0                             // add high and carry
s_setpc_b64 s[34:35]                               // branch to PrefetchGlobalLastIterEnd_5
label_NoBranch_13:

s_waitcnt vmcnt(0)                                 // lgkmcnt=-1 vmcnt=0 8wait for global read


/* local write a */
_ds_store_b128 v[vgprLocalWriteAddrA], v[vgprG2LA+0:vgprG2LA+0+3] offset:0 // lwoA_0_0_0_0 = (0*LSCA) + (0*LSPA)(*MT0I+PAD) = 0
_ds_store_b128 v[vgprLocalWriteAddrA], v[vgprG2LA+4:vgprG2LA+4+3] offset:1024 // lwoA_0_0_1_0 = (0*LSCA) + (1*LSPA)(*MT0I+PAD) = 1024
_ds_store_b128 v[vgprLocalWriteAddrA], v[vgprG2LA+8:vgprG2LA+8+3] offset:2048 // lwoA_0_0_2_0 = (0*LSCA) + (2*LSPA)(*MT0I+PAD) = 2048
_ds_store_b128 v[vgprLocalWriteAddrA], v[vgprG2LA+12:vgprG2LA+12+3] offset:3072 // lwoA_0_0_3_0 = (0*LSCA) + (3*LSPA)(*MT0I+PAD) = 3072

/* local write b */
_ds_store_b128 v[vgprLocalWriteAddrB], v[vgprG2LB+0:vgprG2LB+0+3] offset:0 // lwoB_0_0_0_0 = (0*LSCB)*(MT1J+PAD) + (0*LSPB) = 0
_ds_store_b128 v[vgprLocalWriteAddrB], v[vgprG2LB+4:vgprG2LB+4+3] offset:1152 // lwoB_0_0_1_0 = (0*LSCB)*(MT1J+PAD) + (1*LSPB) = 1152
_ds_store_b128 v[vgprLocalWriteAddrB], v[vgprG2LB+8:vgprG2LB+8+3] offset:2304 // lwoB_0_0_2_0 = (0*LSCB)*(MT1J+PAD) + (2*LSPB) = 2304


/* local write swap a */


/* (EPS=1) local write swap internal offset -> 32768 */


/* local write swap b */


/* (EPS=1) local write swap internal offset -> 32768 */


	;; [unrolled: 1-line block ×3, first 2 shown]
s_waitcnt lgkmcnt(0)                               // lgkmcnt=0 vmcnt=-10prefetch wait for local write

s_waitcnt lgkmcnt(0) & vmcnt(0)                    // force waitcnt0
s_barrier //


/* local read prefetch a */

_ds_load_u8 v[vgprValuA_X0_I0+0], v[vgprLocalReadAddrA] offset:0 // L -> Reg lro=0 swapByteOffset=0 ti=128 vIdx=0 rIdx=0 oIdx=0 buffer=0 iui=0
_ds_load_u8 v105, v[vgprLocalReadAddrA] offset:128 // L -> Reg lro=0 swapByteOffset=0 ti=128 vIdx=0 rIdx=1 oIdx=0 buffer=0 iui=0
_ds_load_u8_d16_hi v106, v[vgprLocalReadAddrA] offset:256 // L -> Reg lro=0 swapByteOffset=0 ti=128 vIdx=0 rIdx=2 oIdx=0 buffer=0 iui=0
_ds_load_u8_d16_hi v107, v[vgprLocalReadAddrA] offset:384 // L -> Reg lro=0 swapByteOffset=0 ti=128 vIdx=0 rIdx=3 oIdx=0 buffer=0 iui=0


/* local read prefetch b */

_ds_load_b128 v[vgprValuB_X0_I0+0:vgprValuB_X0_I0+0+3], v[vgprLocalReadAddrB] offset:0 // L -> Reg lro=0 swapByteOffset=0 ti=32 vIdx=0 rIdx=0 oIdx=0 buffer=0 iui=0
_ds_load_b128 v[vgprValuB_X0_I0+4:vgprValuB_X0_I0+4+3], v[vgprLocalReadAddrB] offset:4608 // L -> Reg lro=0 swapByteOffset=0 ti=32 vIdx=1 rIdx=0 oIdx=0 buffer=0 iui=0
	;; [unrolled: 1-line block ×3, first 2 shown]


/* local read inc a */

/* N/A, lro->512 */
/* self.localReadDoCntA 1 self.localReadDoCntB 1 */


/* local read inc b */

/* N/A, lro->32 */
/* self.localReadDoCntA 1 self.localReadDoCntB 1 */


	;; [unrolled: 1-line block ×3, first 2 shown]
/******************************************/
/* Unrolled Loop(s) - Begin               */
/******************************************/

openLoopL_14:
s_cmp_le_u32 s[sgprLoopCounterL], 0x1              // LoopCounterL < EndCounter
s_cbranch_scc1 LoopEndL_2                          // do not enter LoopL
LoopBeginL_1:


/******************************************/
/* Unrolled Loop 1/2 - Begin              */
/******************************************/

label_0015: // LoopCopy1 


/* Begin Each Unroll: Check VGPR.checkin for INT8 LW */



/* iter 0 */

/*  grEndMfmaIndex:6, lwStartMfmaIndex:37, lwEndMfmaIndex:43  */
/*  numMfmaForLR:2, barrierMfmaIndex:45 */
/*  mfmaIndex:0  */
_buffer_load_b128 v[vgprG2LA+0:vgprG2LA+0+3], v[vgprGlobalReadOffsetA+0], s[sgprSrdA:sgprSrdA+3], 0, offen offset:0 // G -> Reg 0_0_0_0
s_waitcnt lgkmcnt(0)                               // lgkmcnt=0 vmcnt=-1wait for prior local read local write old=0, new=0 newLW=0 newLR=0
/* pack scheduling: packAIdx:3, packBIdx:0 */
_v_lshl_or_b32 v[vgprValuA_X0_I0+0], v105, 0x8, v[vgprValuA_X0_I0+0] // pack two int8 Vgpr to one half Vgpr
_v_lshl_or_b32 v106, v107, 0x8, v106               // pack two int8 Vgpr to one half Vgpr
v_or_b32 v[vgprValuA_X0_I0+0], v[vgprValuA_X0_I0+0], v106 // pack two half Vgpr to one Vgpr
s_nop  1                                           // VALU packing writes to be consumed by matrix instruction
v_mfma_i32_32x32x8i8 a[0+0:15+0], v[vgprValuA_X0_I0+0+0+0], v[vgprValuB_X0_I0+0+0+0], a[0:15]
/*  mfmaIndex:1  */
_ds_load_u8 v[vgprValuA_X1_I0+0], v[vgprLocalReadAddrA] offset:512 // L -> Reg lro=512 swapByteOffset=0 ti=128 vIdx=0 rIdx=0 oIdx=0 buffer=1 iui=0
_ds_load_u8 v108, v[vgprLocalReadAddrA] offset:640 // L -> Reg lro=512 swapByteOffset=0 ti=128 vIdx=0 rIdx=1 oIdx=0 buffer=1 iui=0
_ds_load_u8_d16_hi v109, v[vgprLocalReadAddrA] offset:768 // L -> Reg lro=512 swapByteOffset=0 ti=128 vIdx=0 rIdx=2 oIdx=0 buffer=1 iui=0
_ds_load_u8_d16_hi v110, v[vgprLocalReadAddrA] offset:896 // L -> Reg lro=512 swapByteOffset=0 ti=128 vIdx=0 rIdx=3 oIdx=0 buffer=1 iui=0
_ds_load_b128 v[vgprValuB_X4_I0+0:vgprValuB_X4_I0+0+3], v[vgprLocalReadAddrB] offset:32 // L -> Reg lro=32 swapByteOffset=0 ti=32 vIdx=0 rIdx=0 oIdx=0 buffer=4 iui=0
_buffer_load_b128 v[vgprG2LA+4:vgprG2LA+4+3], v[vgprGlobalReadOffsetA+1], s[sgprSrdA:sgprSrdA+3], 0, offen offset:0 // G -> Reg 0_0_1_0
v_mfma_i32_32x32x8i8 a[16+0:31+0], v[vgprValuA_X0_I0+0+0+0], v[vgprValuB_X0_I0+4+0+0], a[16:31]
/*  mfmaIndex:2  */
_ds_load_b128 v[vgprValuB_X4_I0+4:vgprValuB_X4_I0+4+3], v[vgprLocalReadAddrB] offset:4640 // L -> Reg lro=32 swapByteOffset=0 ti=32 vIdx=1 rIdx=0 oIdx=0 buffer=4 iui=0
_ds_load_b128 v[vgprValuB_X4_I0+8:vgprValuB_X4_I0+8+3], v[vgprLocalReadAddrB] offset:9248 // L -> Reg lro=32 swapByteOffset=0 ti=32 vIdx=2 rIdx=0 oIdx=0 buffer=4 iui=0
/* localReadsVacancy: latencyLeft 5 */
_ds_load_u8 v[vgprValuA_X2_I0+0], v[vgprLocalReadAddrA] offset:1024 // L -> Reg lro=1024 swapByteOffset=0 ti=128 vIdx=0 rIdx=0 oIdx=0 buffer=2 iui=0
_buffer_load_b128 v[vgprG2LA+8:vgprG2LA+8+3], v[vgprGlobalReadOffsetA+2], s[sgprSrdA:sgprSrdA+3], 0, offen offset:0 // G -> Reg 0_0_2_0
v_mfma_i32_32x32x8i8 a[32+0:47+0], v[vgprValuA_X0_I0+0+0+0], v[vgprValuB_X0_I0+8+0+0], a[32:47]
/* numPrefetchIter=0 */
/* dataAtIterA=-1 numReadsIterA=1 skipReadsIterA=1 readsPerIterA=4 */
/* dataAtIterB=-1 numReadsIterB=1 skipReadsIterB=1 readsPerIterB=3 */


/* iter 1 */

/*  grEndMfmaIndex:6, lwStartMfmaIndex:37, lwEndMfmaIndex:43  */
/*  numMfmaForLR:2, barrierMfmaIndex:45 */
/*  mfmaIndex:3  */
_ds_load_u8 v105, v[vgprLocalReadAddrA] offset:1152 // L -> Reg lro=1024 swapByteOffset=0 ti=128 vIdx=0 rIdx=1 oIdx=0 buffer=2 iui=0
_ds_load_u8_d16_hi v106, v[vgprLocalReadAddrA] offset:1280 // L -> Reg lro=1024 swapByteOffset=0 ti=128 vIdx=0 rIdx=2 oIdx=0 buffer=2 iui=0
_ds_load_u8_d16_hi v107, v[vgprLocalReadAddrA] offset:1408 // L -> Reg lro=1024 swapByteOffset=0 ti=128 vIdx=0 rIdx=3 oIdx=0 buffer=2 iui=0
_ds_load_b128 v[vgprValuB_X8_I0+0:vgprValuB_X8_I0+0+3], v[vgprLocalReadAddrB] offset:64 // L -> Reg lro=64 swapByteOffset=0 ti=32 vIdx=0 rIdx=0 oIdx=0 buffer=8 iui=0
_buffer_load_b128 v[vgprG2LA+12:vgprG2LA+12+3], v[vgprGlobalReadOffsetA+3], s[sgprSrdA:sgprSrdA+3], 0, offen offset:0 // G -> Reg 0_0_3_0
s_waitcnt lgkmcnt(5)                               // lgkmcnt=0 vmcnt=-1wait for prior local read local write old=1, new=5 newLW=0 newLR=4
/* pack scheduling: packAIdx:3, packBIdx:0 */
_v_lshl_or_b32 v[vgprValuA_X1_I0+0], v108, 0x8, v[vgprValuA_X1_I0+0] // pack two int8 Vgpr to one half Vgpr
_v_lshl_or_b32 v109, v110, 0x8, v109               // pack two int8 Vgpr to one half Vgpr
v_or_b32 v[vgprValuA_X1_I0+0], v[vgprValuA_X1_I0+0], v109 // pack two half Vgpr to one Vgpr
s_nop  1                                           // VALU packing writes to be consumed by matrix instruction
v_mfma_i32_32x32x8i8 a[0+0:15+0], v[vgprValuA_X1_I0+0+0+0], v[vgprValuB_X0_I0+0+1+0], a[0:15]
/*  mfmaIndex:4  */
_ds_load_b128 v[vgprValuB_X8_I0+4:vgprValuB_X8_I0+4+3], v[vgprLocalReadAddrB] offset:4672 // L -> Reg lro=64 swapByteOffset=0 ti=32 vIdx=1 rIdx=0 oIdx=0 buffer=8 iui=0
_ds_load_b128 v[vgprValuB_X8_I0+8:vgprValuB_X8_I0+8+3], v[vgprLocalReadAddrB] offset:9280 // L -> Reg lro=64 swapByteOffset=0 ti=32 vIdx=2 rIdx=0 oIdx=0 buffer=8 iui=0
/* localReadsVacancy: latencyLeft 5 */
_ds_load_u8 v[vgprValuA_X3_I0+0], v[vgprLocalReadAddrA] offset:1536 // L -> Reg lro=1536 swapByteOffset=0 ti=128 vIdx=0 rIdx=0 oIdx=0 buffer=3 iui=0
_buffer_load_b128 v[vgprG2LB+0:vgprG2LB+0+3], v[vgprGlobalReadOffsetB+0], s[sgprSrdB:sgprSrdB+3], 0, offen offset:0 // G -> Reg 0_0_0_0
v_mfma_i32_32x32x8i8 a[16+0:31+0], v[vgprValuA_X1_I0+0+0+0], v[vgprValuB_X0_I0+4+1+0], a[16:31]
/*  mfmaIndex:5  */
/* localReadsVacancy: latencyLeft 13 */
_ds_load_b128 v[vgprValuB_X12_I0+0:vgprValuB_X12_I0+0+3], v[vgprLocalReadAddrB] offset:96 // L -> Reg lro=96 swapByteOffset=0 ti=32 vIdx=0 rIdx=0 oIdx=0 buffer=12 iui=0
_ds_load_b128 v[vgprValuB_X12_I0+4:vgprValuB_X12_I0+4+3], v[vgprLocalReadAddrB] offset:4704 // L -> Reg lro=96 swapByteOffset=0 ti=32 vIdx=1 rIdx=0 oIdx=0 buffer=12 iui=0
	;; [unrolled: 1-line block ×3, first 2 shown]
_buffer_load_b128 v[vgprG2LB+4:vgprG2LB+4+3], v[vgprGlobalReadOffsetB+1], s[sgprSrdB:sgprSrdB+3], 0, offen offset:0 // G -> Reg 0_0_1_0
v_mfma_i32_32x32x8i8 a[32+0:47+0], v[vgprValuA_X1_I0+0+0+0], v[vgprValuB_X0_I0+8+1+0], a[32:47]
/* numPrefetchIter=0 */
/* dataAtIterA=0 numReadsIterA=2 skipReadsIterA=1 readsPerIterA=4 */
/* dataAtIterB=-1 numReadsIterB=2 skipReadsIterB=0 readsPerIterB=3 */


/* iter 2 */

/*  grEndMfmaIndex:6, lwStartMfmaIndex:37, lwEndMfmaIndex:43  */
/*  numMfmaForLR:2, barrierMfmaIndex:45 */
/*  mfmaIndex:6  */
_ds_load_u8 v108, v[vgprLocalReadAddrA] offset:1664 // L -> Reg lro=1536 swapByteOffset=0 ti=128 vIdx=0 rIdx=1 oIdx=0 buffer=3 iui=0
_ds_load_u8_d16_hi v109, v[vgprLocalReadAddrA] offset:1792 // L -> Reg lro=1536 swapByteOffset=0 ti=128 vIdx=0 rIdx=2 oIdx=0 buffer=3 iui=0
_ds_load_u8_d16_hi v110, v[vgprLocalReadAddrA] offset:1920 // L -> Reg lro=1536 swapByteOffset=0 ti=128 vIdx=0 rIdx=3 oIdx=0 buffer=3 iui=0
/* localReadsVacancy: latencyLeft 7 */
_ds_load_u8 v[vgprValuA_X4_I0+0], v[vgprLocalReadAddrA] offset:4096 // L -> Reg lro=4096 swapByteOffset=0 ti=128 vIdx=0 rIdx=0 oIdx=0 buffer=4 iui=0
_ds_load_u8 v[vgprValuA_X5_I0+0], v[vgprLocalReadAddrA] offset:4608 // L -> Reg lro=4608 swapByteOffset=0 ti=128 vIdx=0 rIdx=0 oIdx=0 buffer=5 iui=0
_ds_load_u8 v[vgprValuA_X6_I0+0], v[vgprLocalReadAddrA] offset:5120 // L -> Reg lro=5120 swapByteOffset=0 ti=128 vIdx=0 rIdx=0 oIdx=0 buffer=6 iui=0
_buffer_load_b128 v[vgprG2LB+8:vgprG2LB+8+3], v[vgprGlobalReadOffsetB+2], s[sgprSrdB:sgprSrdB+3], 0, offen offset:0 // G -> Reg 0_0_2_0
s_waitcnt lgkmcnt(10)                              // lgkmcnt=0 vmcnt=-1wait for prior local read local write old=4, new=7 newLW=0 newLR=3
/* pack scheduling: packAIdx:3, packBIdx:0 */
_v_lshl_or_b32 v[vgprValuA_X2_I0+0], v105, 0x8, v[vgprValuA_X2_I0+0] // pack two int8 Vgpr to one half Vgpr
_v_lshl_or_b32 v106, v107, 0x8, v106               // pack two int8 Vgpr to one half Vgpr
v_or_b32 v[vgprValuA_X2_I0+0], v[vgprValuA_X2_I0+0], v106 // pack two half Vgpr to one Vgpr
s_nop  1                                           // VALU packing writes to be consumed by matrix instruction
v_mfma_i32_32x32x8i8 a[0+0:15+0], v[vgprValuA_X2_I0+0+0+0], v[vgprValuB_X0_I0+0+2+0], a[0:15]
/*  mfmaIndex:7  */
/* localReadsVacancy: latencyLeft 13 */
_ds_load_u8 v[vgprValuA_X7_I0+0], v[vgprLocalReadAddrA] offset:5632 // L -> Reg lro=5632 swapByteOffset=0 ti=128 vIdx=0 rIdx=0 oIdx=0 buffer=7 iui=0
_ds_load_u8 v[vgprValuA_X8_I0+0], v[vgprLocalReadAddrA] offset:8192 // L -> Reg lro=8192 swapByteOffset=0 ti=128 vIdx=0 rIdx=0 oIdx=0 buffer=8 iui=0
_ds_load_u8 v[vgprValuA_X9_I0+0], v[vgprLocalReadAddrA] offset:8704 // L -> Reg lro=8704 swapByteOffset=0 ti=128 vIdx=0 rIdx=0 oIdx=0 buffer=9 iui=0
_ds_load_u8 v[vgprValuA_X10_I0+0], v[vgprLocalReadAddrA] offset:9216 // L -> Reg lro=9216 swapByteOffset=0 ti=128 vIdx=0 rIdx=0 oIdx=0 buffer=10 iui=0
_ds_load_u8 v[vgprValuA_X11_I0+0], v[vgprLocalReadAddrA] offset:9728 // L -> Reg lro=9728 swapByteOffset=0 ti=128 vIdx=0 rIdx=0 oIdx=0 buffer=11 iui=0
_ds_load_u8 v[vgprValuA_X12_I0+0], v[vgprLocalReadAddrA] offset:12288 // L -> Reg lro=12288 swapByteOffset=0 ti=128 vIdx=0 rIdx=0 oIdx=0 buffer=12 iui=0

/* global read inc A loopL */
s_add_u32 s[sgprSrdA+0], s[sgprSrdA+0], s[sgprGlobalReadIncsA+0] // gra SRD += inc(lower)
s_addc_u32  s[sgprSrdA+1], s[sgprSrdA+1], 0        // gra SRD += inc(upper)
s_sub_u32 s[sgprShadowLimitA+0], s[sgprShadowLimitA+0], s[sgprGlobalReadIncsA+0] // limit -= inc)
s_subb_u32 s[sgprShadowLimitA+1], s[sgprShadowLimitA+1], 0 // limit -= inc)
s_cmp_eq_u32 s[sgprShadowLimitA+1], 0              // are we within 2^32?
s_cmov_b32 s[sgprSrdA+2], s[sgprShadowLimitA+0]    // Move shadow to real if we are within 2^32

/* global read inc B loopL */
s_add_u32 s[sgprSrdB+0], s[sgprSrdB+0], s[sgprGlobalReadIncsB+0] // gra SRD += inc(lower)
v_mfma_i32_32x32x8i8 a[16+0:31+0], v[vgprValuA_X2_I0+0+0+0], v[vgprValuB_X0_I0+4+2+0], a[16:31]
/*  mfmaIndex:8  */
/* localReadsVacancy: latencyLeft 13 */
_ds_load_u8 v[vgprValuA_X13_I0+0], v[vgprLocalReadAddrA] offset:12800 // L -> Reg lro=12800 swapByteOffset=0 ti=128 vIdx=0 rIdx=0 oIdx=0 buffer=13 iui=0
_ds_load_u8 v[vgprValuA_X14_I0+0], v[vgprLocalReadAddrA] offset:13312 // L -> Reg lro=13312 swapByteOffset=0 ti=128 vIdx=0 rIdx=0 oIdx=0 buffer=14 iui=0
_ds_load_u8 v[vgprValuA_X15_I0+0], v[vgprLocalReadAddrA] offset:13824 // L -> Reg lro=13824 swapByteOffset=0 ti=128 vIdx=0 rIdx=0 oIdx=0 buffer=15 iui=0
s_addc_u32  s[sgprSrdB+1], s[sgprSrdB+1], 0        // gra SRD += inc(upper)
s_sub_u32 s[sgprShadowLimitB+0], s[sgprShadowLimitB+0], s[sgprGlobalReadIncsB+0] // limit -= inc)
s_subb_u32 s[sgprShadowLimitB+1], s[sgprShadowLimitB+1], 0 // limit -= inc)
s_cmp_eq_u32 s[sgprShadowLimitB+1], 0              // are we within 2^32?
s_cmov_b32 s[sgprSrdB+2], s[sgprShadowLimitB+0]    // Move shadow to real if we are within 2^32
v_mfma_i32_32x32x8i8 a[32+0:47+0], v[vgprValuA_X2_I0+0+0+0], v[vgprValuB_X0_I0+8+2+0], a[32:47]
/* numPrefetchIter=0 */
/* dataAtIterA=1 numReadsIterA=3 skipReadsIterA=1 readsPerIterA=4 */
/* dataAtIterB=-1 numReadsIterB=3 skipReadsIterB=0 readsPerIterB=3 */


/* iter 3 */

/*  grEndMfmaIndex:6, lwStartMfmaIndex:37, lwEndMfmaIndex:43  */
/*  numMfmaForLR:2, barrierMfmaIndex:45 */
/*  mfmaIndex:9  */
_ds_load_u8 v105, v[vgprLocalReadAddrA] offset:4224 // L -> Reg lro=4096 swapByteOffset=0 ti=128 vIdx=0 rIdx=1 oIdx=0 buffer=4 iui=0
_ds_load_u8_d16_hi v106, v[vgprLocalReadAddrA] offset:4352 // L -> Reg lro=4096 swapByteOffset=0 ti=128 vIdx=0 rIdx=2 oIdx=0 buffer=4 iui=0
_ds_load_u8_d16_hi v107, v[vgprLocalReadAddrA] offset:4480 // L -> Reg lro=4096 swapByteOffset=0 ti=128 vIdx=0 rIdx=3 oIdx=0 buffer=4 iui=0
/* localReadsVacancy: latencyLeft 7 */
s_waitcnt lgkmcnt(15)                              // lgkmcnt=0 vmcnt=-1wait for prior local read local write old=1, new=4 newLW=0 newLR=3
/* pack scheduling: packAIdx:3, packBIdx:0 */
_v_lshl_or_b32 v[vgprValuA_X3_I0+0], v108, 0x8, v[vgprValuA_X3_I0+0] // pack two int8 Vgpr to one half Vgpr
_v_lshl_or_b32 v109, v110, 0x8, v109               // pack two int8 Vgpr to one half Vgpr
v_or_b32 v[vgprValuA_X3_I0+0], v[vgprValuA_X3_I0+0], v109 // pack two half Vgpr to one Vgpr
s_nop  1                                           // VALU packing writes to be consumed by matrix instruction
v_mfma_i32_32x32x8i8 a[0+0:15+0], v[vgprValuA_X3_I0+0+0+0], v[vgprValuB_X0_I0+0+3+0], a[0:15]
/*  mfmaIndex:10  */
/* localReadsVacancy: latencyLeft 13 */
v_mfma_i32_32x32x8i8 a[16+0:31+0], v[vgprValuA_X3_I0+0+0+0], v[vgprValuB_X0_I0+4+3+0], a[16:31]
/*  mfmaIndex:11  */
/* localReadsVacancy: latencyLeft 13 */
v_mfma_i32_32x32x8i8 a[32+0:47+0], v[vgprValuA_X3_I0+0+0+0], v[vgprValuB_X0_I0+8+3+0], a[32:47]
/* numPrefetchIter=0 */
/* dataAtIterA=2 numReadsIterA=4 skipReadsIterA=1 readsPerIterA=4 */
/* dataAtIterB=-1 numReadsIterB=3 skipReadsIterB=0 readsPerIterB=3 */


/* iter 4 */

/*  grEndMfmaIndex:6, lwStartMfmaIndex:37, lwEndMfmaIndex:43  */
/*  numMfmaForLR:2, barrierMfmaIndex:45 */
/*  mfmaIndex:12  */
_ds_load_u8 v108, v[vgprLocalReadAddrA] offset:4736 // L -> Reg lro=4608 swapByteOffset=0 ti=128 vIdx=0 rIdx=1 oIdx=0 buffer=5 iui=0
_ds_load_u8_d16_hi v109, v[vgprLocalReadAddrA] offset:4864 // L -> Reg lro=4608 swapByteOffset=0 ti=128 vIdx=0 rIdx=2 oIdx=0 buffer=5 iui=0
_ds_load_u8_d16_hi v110, v[vgprLocalReadAddrA] offset:4992 // L -> Reg lro=4608 swapByteOffset=0 ti=128 vIdx=0 rIdx=3 oIdx=0 buffer=5 iui=0
/* localReadsVacancy: latencyLeft 7 */
s_waitcnt lgkmcnt(3)                               // lgkmcnt=0 vmcnt=-1wait for prior local read local write old=0, new=3 newLW=0 newLR=3
/* pack scheduling: packAIdx:3, packBIdx:0 */
_v_lshl_or_b32 v[vgprValuA_X4_I0+0], v105, 0x8, v[vgprValuA_X4_I0+0] // pack two int8 Vgpr to one half Vgpr
_v_lshl_or_b32 v106, v107, 0x8, v106               // pack two int8 Vgpr to one half Vgpr
v_or_b32 v[vgprValuA_X4_I0+0], v[vgprValuA_X4_I0+0], v106 // pack two half Vgpr to one Vgpr
s_nop  1                                           // VALU packing writes to be consumed by matrix instruction
v_mfma_i32_32x32x8i8 a[0+0:15+0], v[vgprValuA_X4_I0+0+0+0], v[vgprValuB_X4_I0+0+0+0], a[0:15]
/*  mfmaIndex:13  */
/* localReadsVacancy: latencyLeft 13 */
v_mfma_i32_32x32x8i8 a[16+0:31+0], v[vgprValuA_X4_I0+0+0+0], v[vgprValuB_X4_I0+4+0+0], a[16:31]
/*  mfmaIndex:14  */
/* localReadsVacancy: latencyLeft 13 */
v_mfma_i32_32x32x8i8 a[32+0:47+0], v[vgprValuA_X4_I0+0+0+0], v[vgprValuB_X4_I0+8+0+0], a[32:47]
/* numPrefetchIter=0 */
/* dataAtIterA=3 numReadsIterA=5 skipReadsIterA=1 readsPerIterA=4 */
/* dataAtIterB=0 numReadsIterB=3 skipReadsIterB=0 readsPerIterB=3 */


/* iter 5 */

/*  grEndMfmaIndex:6, lwStartMfmaIndex:37, lwEndMfmaIndex:43  */
/*  numMfmaForLR:2, barrierMfmaIndex:45 */
/*  mfmaIndex:15  */
_ds_load_u8 v105, v[vgprLocalReadAddrA] offset:5248 // L -> Reg lro=5120 swapByteOffset=0 ti=128 vIdx=0 rIdx=1 oIdx=0 buffer=6 iui=0
_ds_load_u8_d16_hi v106, v[vgprLocalReadAddrA] offset:5376 // L -> Reg lro=5120 swapByteOffset=0 ti=128 vIdx=0 rIdx=2 oIdx=0 buffer=6 iui=0
_ds_load_u8_d16_hi v107, v[vgprLocalReadAddrA] offset:5504 // L -> Reg lro=5120 swapByteOffset=0 ti=128 vIdx=0 rIdx=3 oIdx=0 buffer=6 iui=0
/* localReadsVacancy: latencyLeft 7 */
s_waitcnt lgkmcnt(3)                               // lgkmcnt=0 vmcnt=-1wait for prior local read local write old=0, new=3 newLW=0 newLR=3
/* pack scheduling: packAIdx:3, packBIdx:0 */
_v_lshl_or_b32 v[vgprValuA_X5_I0+0], v108, 0x8, v[vgprValuA_X5_I0+0] // pack two int8 Vgpr to one half Vgpr
_v_lshl_or_b32 v109, v110, 0x8, v109               // pack two int8 Vgpr to one half Vgpr
v_or_b32 v[vgprValuA_X5_I0+0], v[vgprValuA_X5_I0+0], v109 // pack two half Vgpr to one Vgpr
s_nop  1                                           // VALU packing writes to be consumed by matrix instruction
v_mfma_i32_32x32x8i8 a[0+0:15+0], v[vgprValuA_X5_I0+0+0+0], v[vgprValuB_X4_I0+0+1+0], a[0:15]
/*  mfmaIndex:16  */
/* localReadsVacancy: latencyLeft 13 */
v_mfma_i32_32x32x8i8 a[16+0:31+0], v[vgprValuA_X5_I0+0+0+0], v[vgprValuB_X4_I0+4+1+0], a[16:31]
/*  mfmaIndex:17  */
/* localReadsVacancy: latencyLeft 13 */
v_mfma_i32_32x32x8i8 a[32+0:47+0], v[vgprValuA_X5_I0+0+0+0], v[vgprValuB_X4_I0+8+1+0], a[32:47]
/* numPrefetchIter=0 */
/* dataAtIterA=4 numReadsIterA=6 skipReadsIterA=1 readsPerIterA=4 */
/* dataAtIterB=0 numReadsIterB=3 skipReadsIterB=0 readsPerIterB=3 */


/* iter 6 */

/*  grEndMfmaIndex:6, lwStartMfmaIndex:37, lwEndMfmaIndex:43  */
/*  numMfmaForLR:2, barrierMfmaIndex:45 */
/*  mfmaIndex:18  */
_ds_load_u8 v108, v[vgprLocalReadAddrA] offset:5760 // L -> Reg lro=5632 swapByteOffset=0 ti=128 vIdx=0 rIdx=1 oIdx=0 buffer=7 iui=0
_ds_load_u8_d16_hi v109, v[vgprLocalReadAddrA] offset:5888 // L -> Reg lro=5632 swapByteOffset=0 ti=128 vIdx=0 rIdx=2 oIdx=0 buffer=7 iui=0
_ds_load_u8_d16_hi v110, v[vgprLocalReadAddrA] offset:6016 // L -> Reg lro=5632 swapByteOffset=0 ti=128 vIdx=0 rIdx=3 oIdx=0 buffer=7 iui=0
/* localReadsVacancy: latencyLeft 7 */
s_waitcnt lgkmcnt(3)                               // lgkmcnt=0 vmcnt=-1wait for prior local read local write old=0, new=3 newLW=0 newLR=3
/* pack scheduling: packAIdx:3, packBIdx:0 */
_v_lshl_or_b32 v[vgprValuA_X6_I0+0], v105, 0x8, v[vgprValuA_X6_I0+0] // pack two int8 Vgpr to one half Vgpr
_v_lshl_or_b32 v106, v107, 0x8, v106               // pack two int8 Vgpr to one half Vgpr
v_or_b32 v[vgprValuA_X6_I0+0], v[vgprValuA_X6_I0+0], v106 // pack two half Vgpr to one Vgpr
s_nop  1                                           // VALU packing writes to be consumed by matrix instruction
v_mfma_i32_32x32x8i8 a[0+0:15+0], v[vgprValuA_X6_I0+0+0+0], v[vgprValuB_X4_I0+0+2+0], a[0:15]
/*  mfmaIndex:19  */
/* localReadsVacancy: latencyLeft 13 */
v_mfma_i32_32x32x8i8 a[16+0:31+0], v[vgprValuA_X6_I0+0+0+0], v[vgprValuB_X4_I0+4+2+0], a[16:31]
/*  mfmaIndex:20  */
/* localReadsVacancy: latencyLeft 13 */
v_mfma_i32_32x32x8i8 a[32+0:47+0], v[vgprValuA_X6_I0+0+0+0], v[vgprValuB_X4_I0+8+2+0], a[32:47]
/* numPrefetchIter=0 */
/* dataAtIterA=5 numReadsIterA=7 skipReadsIterA=1 readsPerIterA=4 */
/* dataAtIterB=0 numReadsIterB=3 skipReadsIterB=0 readsPerIterB=3 */


/* iter 7 */

/*  grEndMfmaIndex:6, lwStartMfmaIndex:37, lwEndMfmaIndex:43  */
/*  numMfmaForLR:2, barrierMfmaIndex:45 */
/*  mfmaIndex:21  */
_ds_load_u8 v105, v[vgprLocalReadAddrA] offset:8320 // L -> Reg lro=8192 swapByteOffset=0 ti=128 vIdx=0 rIdx=1 oIdx=0 buffer=8 iui=0
_ds_load_u8_d16_hi v106, v[vgprLocalReadAddrA] offset:8448 // L -> Reg lro=8192 swapByteOffset=0 ti=128 vIdx=0 rIdx=2 oIdx=0 buffer=8 iui=0
_ds_load_u8_d16_hi v107, v[vgprLocalReadAddrA] offset:8576 // L -> Reg lro=8192 swapByteOffset=0 ti=128 vIdx=0 rIdx=3 oIdx=0 buffer=8 iui=0
/* localReadsVacancy: latencyLeft 7 */
s_waitcnt lgkmcnt(3)                               // lgkmcnt=0 vmcnt=-1wait for prior local read local write old=0, new=3 newLW=0 newLR=3
/* pack scheduling: packAIdx:3, packBIdx:0 */
_v_lshl_or_b32 v[vgprValuA_X7_I0+0], v108, 0x8, v[vgprValuA_X7_I0+0] // pack two int8 Vgpr to one half Vgpr
_v_lshl_or_b32 v109, v110, 0x8, v109               // pack two int8 Vgpr to one half Vgpr
v_or_b32 v[vgprValuA_X7_I0+0], v[vgprValuA_X7_I0+0], v109 // pack two half Vgpr to one Vgpr
s_nop  1                                           // VALU packing writes to be consumed by matrix instruction
v_mfma_i32_32x32x8i8 a[0+0:15+0], v[vgprValuA_X7_I0+0+0+0], v[vgprValuB_X4_I0+0+3+0], a[0:15]
/*  mfmaIndex:22  */
/* localReadsVacancy: latencyLeft 13 */
v_mfma_i32_32x32x8i8 a[16+0:31+0], v[vgprValuA_X7_I0+0+0+0], v[vgprValuB_X4_I0+4+3+0], a[16:31]
/*  mfmaIndex:23  */
/* localReadsVacancy: latencyLeft 13 */
v_mfma_i32_32x32x8i8 a[32+0:47+0], v[vgprValuA_X7_I0+0+0+0], v[vgprValuB_X4_I0+8+3+0], a[32:47]
/* numPrefetchIter=0 */
/* dataAtIterA=6 numReadsIterA=8 skipReadsIterA=1 readsPerIterA=4 */
/* dataAtIterB=0 numReadsIterB=3 skipReadsIterB=0 readsPerIterB=3 */


/* iter 8 */

/*  grEndMfmaIndex:6, lwStartMfmaIndex:37, lwEndMfmaIndex:43  */
/*  numMfmaForLR:2, barrierMfmaIndex:45 */
/*  mfmaIndex:24  */
_ds_load_u8 v108, v[vgprLocalReadAddrA] offset:8832 // L -> Reg lro=8704 swapByteOffset=0 ti=128 vIdx=0 rIdx=1 oIdx=0 buffer=9 iui=0
_ds_load_u8_d16_hi v109, v[vgprLocalReadAddrA] offset:8960 // L -> Reg lro=8704 swapByteOffset=0 ti=128 vIdx=0 rIdx=2 oIdx=0 buffer=9 iui=0
_ds_load_u8_d16_hi v110, v[vgprLocalReadAddrA] offset:9088 // L -> Reg lro=8704 swapByteOffset=0 ti=128 vIdx=0 rIdx=3 oIdx=0 buffer=9 iui=0
/* localReadsVacancy: latencyLeft 7 */
s_waitcnt lgkmcnt(3)                               // lgkmcnt=0 vmcnt=-1wait for prior local read local write old=0, new=3 newLW=0 newLR=3
/* pack scheduling: packAIdx:3, packBIdx:0 */
_v_lshl_or_b32 v[vgprValuA_X8_I0+0], v105, 0x8, v[vgprValuA_X8_I0+0] // pack two int8 Vgpr to one half Vgpr
_v_lshl_or_b32 v106, v107, 0x8, v106               // pack two int8 Vgpr to one half Vgpr
v_or_b32 v[vgprValuA_X8_I0+0], v[vgprValuA_X8_I0+0], v106 // pack two half Vgpr to one Vgpr
s_nop  1                                           // VALU packing writes to be consumed by matrix instruction
v_mfma_i32_32x32x8i8 a[0+0:15+0], v[vgprValuA_X8_I0+0+0+0], v[vgprValuB_X8_I0+0+0+0], a[0:15]
/*  mfmaIndex:25  */
/* localReadsVacancy: latencyLeft 13 */
v_mfma_i32_32x32x8i8 a[16+0:31+0], v[vgprValuA_X8_I0+0+0+0], v[vgprValuB_X8_I0+4+0+0], a[16:31]
/*  mfmaIndex:26  */
/* localReadsVacancy: latencyLeft 13 */
v_mfma_i32_32x32x8i8 a[32+0:47+0], v[vgprValuA_X8_I0+0+0+0], v[vgprValuB_X8_I0+8+0+0], a[32:47]
/* numPrefetchIter=0 */
/* dataAtIterA=7 numReadsIterA=9 skipReadsIterA=1 readsPerIterA=4 */
/* dataAtIterB=1 numReadsIterB=3 skipReadsIterB=0 readsPerIterB=3 */


/* iter 9 */

/*  grEndMfmaIndex:6, lwStartMfmaIndex:37, lwEndMfmaIndex:43  */
/*  numMfmaForLR:2, barrierMfmaIndex:45 */
/*  mfmaIndex:27  */
_ds_load_u8 v105, v[vgprLocalReadAddrA] offset:9344 // L -> Reg lro=9216 swapByteOffset=0 ti=128 vIdx=0 rIdx=1 oIdx=0 buffer=10 iui=0
_ds_load_u8_d16_hi v106, v[vgprLocalReadAddrA] offset:9472 // L -> Reg lro=9216 swapByteOffset=0 ti=128 vIdx=0 rIdx=2 oIdx=0 buffer=10 iui=0
_ds_load_u8_d16_hi v107, v[vgprLocalReadAddrA] offset:9600 // L -> Reg lro=9216 swapByteOffset=0 ti=128 vIdx=0 rIdx=3 oIdx=0 buffer=10 iui=0
/* localReadsVacancy: latencyLeft 7 */
s_waitcnt lgkmcnt(3)                               // lgkmcnt=0 vmcnt=-1wait for prior local read local write old=0, new=3 newLW=0 newLR=3
/* pack scheduling: packAIdx:3, packBIdx:0 */
_v_lshl_or_b32 v[vgprValuA_X9_I0+0], v108, 0x8, v[vgprValuA_X9_I0+0] // pack two int8 Vgpr to one half Vgpr
_v_lshl_or_b32 v109, v110, 0x8, v109               // pack two int8 Vgpr to one half Vgpr
v_or_b32 v[vgprValuA_X9_I0+0], v[vgprValuA_X9_I0+0], v109 // pack two half Vgpr to one Vgpr
s_nop  1                                           // VALU packing writes to be consumed by matrix instruction
v_mfma_i32_32x32x8i8 a[0+0:15+0], v[vgprValuA_X9_I0+0+0+0], v[vgprValuB_X8_I0+0+1+0], a[0:15]
/*  mfmaIndex:28  */
/* localReadsVacancy: latencyLeft 13 */
v_mfma_i32_32x32x8i8 a[16+0:31+0], v[vgprValuA_X9_I0+0+0+0], v[vgprValuB_X8_I0+4+1+0], a[16:31]
/*  mfmaIndex:29  */
/* localReadsVacancy: latencyLeft 13 */
v_mfma_i32_32x32x8i8 a[32+0:47+0], v[vgprValuA_X9_I0+0+0+0], v[vgprValuB_X8_I0+8+1+0], a[32:47]
/* numPrefetchIter=0 */
/* dataAtIterA=8 numReadsIterA=10 skipReadsIterA=1 readsPerIterA=4 */
/* dataAtIterB=1 numReadsIterB=3 skipReadsIterB=0 readsPerIterB=3 */


/* iter 10 */

/*  grEndMfmaIndex:6, lwStartMfmaIndex:37, lwEndMfmaIndex:43  */
/*  numMfmaForLR:2, barrierMfmaIndex:45 */
/*  mfmaIndex:30  */
_ds_load_u8 v108, v[vgprLocalReadAddrA] offset:9856 // L -> Reg lro=9728 swapByteOffset=0 ti=128 vIdx=0 rIdx=1 oIdx=0 buffer=11 iui=0
_ds_load_u8_d16_hi v109, v[vgprLocalReadAddrA] offset:9984 // L -> Reg lro=9728 swapByteOffset=0 ti=128 vIdx=0 rIdx=2 oIdx=0 buffer=11 iui=0
_ds_load_u8_d16_hi v110, v[vgprLocalReadAddrA] offset:10112 // L -> Reg lro=9728 swapByteOffset=0 ti=128 vIdx=0 rIdx=3 oIdx=0 buffer=11 iui=0
/* localReadsVacancy: latencyLeft 7 */
s_waitcnt lgkmcnt(3)                               // lgkmcnt=0 vmcnt=-1wait for prior local read local write old=0, new=3 newLW=0 newLR=3
/* pack scheduling: packAIdx:3, packBIdx:0 */
_v_lshl_or_b32 v[vgprValuA_X10_I0+0], v105, 0x8, v[vgprValuA_X10_I0+0] // pack two int8 Vgpr to one half Vgpr
_v_lshl_or_b32 v106, v107, 0x8, v106               // pack two int8 Vgpr to one half Vgpr
v_or_b32 v[vgprValuA_X10_I0+0], v[vgprValuA_X10_I0+0], v106 // pack two half Vgpr to one Vgpr
s_nop  1                                           // VALU packing writes to be consumed by matrix instruction
v_mfma_i32_32x32x8i8 a[0+0:15+0], v[vgprValuA_X10_I0+0+0+0], v[vgprValuB_X8_I0+0+2+0], a[0:15]
/*  mfmaIndex:31  */
/* localReadsVacancy: latencyLeft 13 */
v_mfma_i32_32x32x8i8 a[16+0:31+0], v[vgprValuA_X10_I0+0+0+0], v[vgprValuB_X8_I0+4+2+0], a[16:31]
/*  mfmaIndex:32  */
/* localReadsVacancy: latencyLeft 13 */
v_mfma_i32_32x32x8i8 a[32+0:47+0], v[vgprValuA_X10_I0+0+0+0], v[vgprValuB_X8_I0+8+2+0], a[32:47]
/* numPrefetchIter=0 */
/* dataAtIterA=9 numReadsIterA=11 skipReadsIterA=1 readsPerIterA=4 */
/* dataAtIterB=1 numReadsIterB=3 skipReadsIterB=0 readsPerIterB=3 */


/* iter 11 */

/*  grEndMfmaIndex:6, lwStartMfmaIndex:37, lwEndMfmaIndex:43  */
/*  numMfmaForLR:2, barrierMfmaIndex:45 */
/*  mfmaIndex:33  */
_ds_load_u8 v105, v[vgprLocalReadAddrA] offset:12416 // L -> Reg lro=12288 swapByteOffset=0 ti=128 vIdx=0 rIdx=1 oIdx=0 buffer=12 iui=0
_ds_load_u8_d16_hi v106, v[vgprLocalReadAddrA] offset:12544 // L -> Reg lro=12288 swapByteOffset=0 ti=128 vIdx=0 rIdx=2 oIdx=0 buffer=12 iui=0
_ds_load_u8_d16_hi v107, v[vgprLocalReadAddrA] offset:12672 // L -> Reg lro=12288 swapByteOffset=0 ti=128 vIdx=0 rIdx=3 oIdx=0 buffer=12 iui=0
/* localReadsVacancy: latencyLeft 7 */
s_waitcnt lgkmcnt(3)                               // lgkmcnt=0 vmcnt=-1wait for prior local read local write old=0, new=3 newLW=0 newLR=3
/* pack scheduling: packAIdx:3, packBIdx:0 */
_v_lshl_or_b32 v[vgprValuA_X11_I0+0], v108, 0x8, v[vgprValuA_X11_I0+0] // pack two int8 Vgpr to one half Vgpr
_v_lshl_or_b32 v109, v110, 0x8, v109               // pack two int8 Vgpr to one half Vgpr
v_or_b32 v[vgprValuA_X11_I0+0], v[vgprValuA_X11_I0+0], v109 // pack two half Vgpr to one Vgpr
s_nop  1                                           // VALU packing writes to be consumed by matrix instruction
v_mfma_i32_32x32x8i8 a[0+0:15+0], v[vgprValuA_X11_I0+0+0+0], v[vgprValuB_X8_I0+0+3+0], a[0:15]
/*  mfmaIndex:34  */
/* localReadsVacancy: latencyLeft 13 */
v_mfma_i32_32x32x8i8 a[16+0:31+0], v[vgprValuA_X11_I0+0+0+0], v[vgprValuB_X8_I0+4+3+0], a[16:31]
/*  mfmaIndex:35  */
/* localReadsVacancy: latencyLeft 13 */
v_mfma_i32_32x32x8i8 a[32+0:47+0], v[vgprValuA_X11_I0+0+0+0], v[vgprValuB_X8_I0+8+3+0], a[32:47]
/* numPrefetchIter=0 */
/* dataAtIterA=10 numReadsIterA=12 skipReadsIterA=1 readsPerIterA=4 */
/* dataAtIterB=1 numReadsIterB=3 skipReadsIterB=0 readsPerIterB=3 */


/* iter 12 */

/*  grEndMfmaIndex:6, lwStartMfmaIndex:37, lwEndMfmaIndex:43  */
/*  numMfmaForLR:2, barrierMfmaIndex:45 */
/*  mfmaIndex:36  */
_ds_load_u8 v108, v[vgprLocalReadAddrA] offset:12928 // L -> Reg lro=12800 swapByteOffset=0 ti=128 vIdx=0 rIdx=1 oIdx=0 buffer=13 iui=0
_ds_load_u8_d16_hi v109, v[vgprLocalReadAddrA] offset:13056 // L -> Reg lro=12800 swapByteOffset=0 ti=128 vIdx=0 rIdx=2 oIdx=0 buffer=13 iui=0
_ds_load_u8_d16_hi v110, v[vgprLocalReadAddrA] offset:13184 // L -> Reg lro=12800 swapByteOffset=0 ti=128 vIdx=0 rIdx=3 oIdx=0 buffer=13 iui=0
/* localReadsVacancy: latencyLeft 7 */
s_waitcnt lgkmcnt(3)                               // lgkmcnt=0 vmcnt=-1wait for prior local read local write old=0, new=3 newLW=0 newLR=3
/* pack scheduling: packAIdx:3, packBIdx:0 */
_v_lshl_or_b32 v[vgprValuA_X12_I0+0], v105, 0x8, v[vgprValuA_X12_I0+0] // pack two int8 Vgpr to one half Vgpr
_v_lshl_or_b32 v106, v107, 0x8, v106               // pack two int8 Vgpr to one half Vgpr
v_or_b32 v[vgprValuA_X12_I0+0], v[vgprValuA_X12_I0+0], v106 // pack two half Vgpr to one Vgpr
s_nop  1                                           // VALU packing writes to be consumed by matrix instruction
v_mfma_i32_32x32x8i8 a[0+0:15+0], v[vgprValuA_X12_I0+0+0+0], v[vgprValuB_X12_I0+0+0+0], a[0:15]
/*  mfmaIndex:37  */
/* localReadsVacancy: latencyLeft 3 */
/* sched write - iter 12 writesPerItem=1 */
s_waitcnt vmcnt(0)                                 // lgkmcnt=-1 vmcnt=0wait for global read before writing to local
_ds_store_b128 v[vgprLocalWriteAddrA], v[vgprG2LA+0:vgprG2LA+0+3] offset:32768 // lwoA_0_0_0_0 = (0*LSCA) + (0*LSPA)(*MT0I+PAD) = 32768
v_mfma_i32_32x32x8i8 a[16+0:31+0], v[vgprValuA_X12_I0+0+0+0], v[vgprValuB_X12_I0+4+0+0], a[16:31]
/*  mfmaIndex:38  */
/* localReadsVacancy: latencyLeft 3 */
/* sched write - iter 12 writesPerItem=1 */
s_waitcnt vmcnt(0)                                 // lgkmcnt=-1 vmcnt=0wait for global read before writing to local
_ds_store_b128 v[vgprLocalWriteAddrA], v[vgprG2LA+4:vgprG2LA+4+3] offset:33792 // lwoA_0_0_1_0 = (0*LSCA) + (1*LSPA)(*MT0I+PAD) = 33792
v_mfma_i32_32x32x8i8 a[32+0:47+0], v[vgprValuA_X12_I0+0+0+0], v[vgprValuB_X12_I0+8+0+0], a[32:47]
/* numPrefetchIter=0 */
/* dataAtIterA=11 numReadsIterA=13 skipReadsIterA=1 readsPerIterA=4 */
/* dataAtIterB=2 numReadsIterB=3 skipReadsIterB=0 readsPerIterB=3 */


/* iter 13 */

/*  grEndMfmaIndex:6, lwStartMfmaIndex:37, lwEndMfmaIndex:43  */
/*  numMfmaForLR:2, barrierMfmaIndex:45 */
/*  mfmaIndex:39  */
_ds_load_u8 v105, v[vgprLocalReadAddrA] offset:13440 // L -> Reg lro=13312 swapByteOffset=0 ti=128 vIdx=0 rIdx=1 oIdx=0 buffer=14 iui=0
/* sched write - iter 13 writesPerItem=1 */
s_waitcnt vmcnt(0)                                 // lgkmcnt=-1 vmcnt=0wait for global read before writing to local
_ds_store_b128 v[vgprLocalWriteAddrA], v[vgprG2LA+8:vgprG2LA+8+3] offset:34816 // lwoA_0_0_2_0 = (0*LSCA) + (2*LSPA)(*MT0I+PAD) = 34816
s_waitcnt lgkmcnt(4)                               // lgkmcnt=0 vmcnt=-1wait for prior local read local write old=0, new=4 newLW=3 newLR=1
/* pack scheduling: packAIdx:3, packBIdx:0 */
_v_lshl_or_b32 v[vgprValuA_X13_I0+0], v108, 0x8, v[vgprValuA_X13_I0+0] // pack two int8 Vgpr to one half Vgpr
_v_lshl_or_b32 v109, v110, 0x8, v109               // pack two int8 Vgpr to one half Vgpr
v_or_b32 v[vgprValuA_X13_I0+0], v[vgprValuA_X13_I0+0], v109 // pack two half Vgpr to one Vgpr
s_nop  1                                           // VALU packing writes to be consumed by matrix instruction
v_mfma_i32_32x32x8i8 a[0+0:15+0], v[vgprValuA_X13_I0+0+0+0], v[vgprValuB_X12_I0+0+1+0], a[0:15]
/*  mfmaIndex:40  */
_ds_load_u8_d16_hi v106, v[vgprLocalReadAddrA] offset:13568 // L -> Reg lro=13312 swapByteOffset=0 ti=128 vIdx=0 rIdx=2 oIdx=0 buffer=14 iui=0
/* sched write - iter 13 writesPerItem=1 */
s_waitcnt vmcnt(0)                                 // lgkmcnt=-1 vmcnt=0wait for global read before writing to local
_ds_store_b128 v[vgprLocalWriteAddrA], v[vgprG2LA+12:vgprG2LA+12+3] offset:35840 // lwoA_0_0_3_0 = (0*LSCA) + (3*LSPA)(*MT0I+PAD) = 35840
v_mfma_i32_32x32x8i8 a[16+0:31+0], v[vgprValuA_X13_I0+0+0+0], v[vgprValuB_X12_I0+4+1+0], a[16:31]
/*  mfmaIndex:41  */
_ds_load_u8_d16_hi v107, v[vgprLocalReadAddrA] offset:13696 // L -> Reg lro=13312 swapByteOffset=0 ti=128 vIdx=0 rIdx=3 oIdx=0 buffer=14 iui=0
/* localReadsVacancy: latencyLeft 1 */
/* sched write - iter 13 writesPerItem=1 */
s_waitcnt vmcnt(0)                                 // lgkmcnt=-1 vmcnt=0wait for global read before writing to local
_ds_store_b128 v[vgprLocalWriteAddrB], v[vgprG2LB+0:vgprG2LB+0+3] offset:32768 // lwoB_0_0_0_0 = (0*LSCB)*(MT1J+PAD) + (0*LSPB) = 32768
v_mfma_i32_32x32x8i8 a[32+0:47+0], v[vgprValuA_X13_I0+0+0+0], v[vgprValuB_X12_I0+8+1+0], a[32:47]
/* numPrefetchIter=0 */
/* dataAtIterA=12 numReadsIterA=14 skipReadsIterA=1 readsPerIterA=4 */
/* dataAtIterB=2 numReadsIterB=3 skipReadsIterB=0 readsPerIterB=3 */


/* iter 14 (reset local read pointers iteration)  (swap and reset local write pointers iteration)  (swap local read pointers iteration)  */

/*  grEndMfmaIndex:6, lwStartMfmaIndex:37, lwEndMfmaIndex:43  */
/*  numMfmaForLR:2, barrierMfmaIndex:45 */
/*  mfmaIndex:42  */
_ds_load_u8 v108, v[vgprLocalReadAddrA] offset:13952 // L -> Reg lro=13824 swapByteOffset=0 ti=128 vIdx=0 rIdx=1 oIdx=0 buffer=15 iui=0
/* sched write - iter 14 writesPerItem=1 */
s_waitcnt vmcnt(0)                                 // lgkmcnt=-1 vmcnt=0wait for global read before writing to local
_ds_store_b128 v[vgprLocalWriteAddrB], v[vgprG2LB+4:vgprG2LB+4+3] offset:33920 // lwoB_0_0_1_0 = (0*LSCB)*(MT1J+PAD) + (1*LSPB) = 33920
s_waitcnt lgkmcnt(3)                               // lgkmcnt=0 vmcnt=-1wait for prior local read local write old=0, new=3 newLW=2 newLR=1
/* pack scheduling: packAIdx:3, packBIdx:0 */
_v_lshl_or_b32 v[vgprValuA_X14_I0+0], v105, 0x8, v[vgprValuA_X14_I0+0] // pack two int8 Vgpr to one half Vgpr
_v_lshl_or_b32 v106, v107, 0x8, v106               // pack two int8 Vgpr to one half Vgpr
v_or_b32 v[vgprValuA_X14_I0+0], v[vgprValuA_X14_I0+0], v106 // pack two half Vgpr to one Vgpr
s_nop  1                                           // VALU packing writes to be consumed by matrix instruction
v_mfma_i32_32x32x8i8 a[0+0:15+0], v[vgprValuA_X14_I0+0+0+0], v[vgprValuB_X12_I0+0+2+0], a[0:15]
/*  mfmaIndex:43  */
_ds_load_u8_d16_hi v109, v[vgprLocalReadAddrA] offset:14080 // L -> Reg lro=13824 swapByteOffset=0 ti=128 vIdx=0 rIdx=2 oIdx=0 buffer=15 iui=0
/* sched write - iter 14 writesPerItem=1 */
s_waitcnt vmcnt(0)                                 // lgkmcnt=-1 vmcnt=0wait for global read before writing to local
_ds_store_b128 v[vgprLocalWriteAddrB], v[vgprG2LB+8:vgprG2LB+8+3] offset:35072 // lwoB_0_0_2_0 = (0*LSCB)*(MT1J+PAD) + (2*LSPB) = 35072

/* local write swap offsets a */

/* (EPS=1) local write swap internal offset -> 0 */

/* local write swap offsets b */

/* (EPS=1) local write swap internal offset -> 0 */
v_mfma_i32_32x32x8i8 a[16+0:31+0], v[vgprValuA_X14_I0+0+0+0], v[vgprValuB_X12_I0+4+2+0], a[16:31]
/*  mfmaIndex:44  */
_ds_load_u8_d16_hi v110, v[vgprLocalReadAddrA] offset:14208 // L -> Reg lro=13824 swapByteOffset=0 ti=128 vIdx=0 rIdx=3 oIdx=0 buffer=15 iui=0
/* localReadsVacancy: latencyLeft 11 */

/* local read swap offsets a */

/* local read swap internal offset -> 32768 */

/* local read swap offsets b */

/* local read swap internal offset -> 32768 */

/* local read init pointers a */

/* localReadInitPointers */

/* local read init pointers b */

/* localReadInitPointers */
v_mfma_i32_32x32x8i8 a[32+0:47+0], v[vgprValuA_X14_I0+0+0+0], v[vgprValuB_X12_I0+8+2+0], a[32:47]
/* numPrefetchIter=0 */
/* dataAtIterA=13 numReadsIterA=15 skipReadsIterA=1 readsPerIterA=4 */
/* dataAtIterB=2 numReadsIterB=3 skipReadsIterB=0 readsPerIterB=3 */


/* iter 15 */

/*  grEndMfmaIndex:6, lwStartMfmaIndex:37, lwEndMfmaIndex:43  */
/*  numMfmaForLR:2, barrierMfmaIndex:45 */
/*  mfmaIndex:45  */
s_waitcnt lgkmcnt(0)                               // lgkmcnt=0 vmcnt=-13wait for local write
s_waitcnt lgkmcnt(0) & vmcnt(0)                    // force waitcnt0
s_barrier //
s_waitcnt lgkmcnt(0)                               // lgkmcnt=0 vmcnt=-1wait for prior local read local write old=0, new=0 newLW=0 newLR=0
/* pack scheduling: packAIdx:3, packBIdx:0 */
_v_lshl_or_b32 v[vgprValuA_X15_I0+0], v108, 0x8, v[vgprValuA_X15_I0+0] // pack two int8 Vgpr to one half Vgpr
_v_lshl_or_b32 v109, v110, 0x8, v109               // pack two int8 Vgpr to one half Vgpr
v_or_b32 v[vgprValuA_X15_I0+0], v[vgprValuA_X15_I0+0], v109 // pack two half Vgpr to one Vgpr
s_nop  1                                           // VALU packing writes to be consumed by matrix instruction
v_mfma_i32_32x32x8i8 a[0+0:15+0], v[vgprValuA_X15_I0+0+0+0], v[vgprValuB_X12_I0+0+3+0], a[0:15]
/*  mfmaIndex:46  */
_ds_load_u8 v[vgprValuA_X0_I0+0], v[vgprLocalReadAddrA] offset:32768 // L -> Reg lro=0 swapByteOffset=32768 ti=128 vIdx=0 rIdx=0 oIdx=0 buffer=0 iui=0
_ds_load_u8 v105, v[vgprLocalReadAddrA] offset:32896 // L -> Reg lro=0 swapByteOffset=32768 ti=128 vIdx=0 rIdx=1 oIdx=0 buffer=0 iui=0
_ds_load_u8_d16_hi v106, v[vgprLocalReadAddrA] offset:33024 // L -> Reg lro=0 swapByteOffset=32768 ti=128 vIdx=0 rIdx=2 oIdx=0 buffer=0 iui=0
_ds_load_u8_d16_hi v107, v[vgprLocalReadAddrA] offset:33152 // L -> Reg lro=0 swapByteOffset=32768 ti=128 vIdx=0 rIdx=3 oIdx=0 buffer=0 iui=0
_ds_load_b128 v[vgprValuB_X0_I0+0:vgprValuB_X0_I0+0+3], v[vgprLocalReadAddrB] offset:32768 // L -> Reg lro=0 swapByteOffset=32768 ti=32 vIdx=0 rIdx=0 oIdx=0 buffer=0 iui=0
v_mfma_i32_32x32x8i8 a[16+0:31+0], v[vgprValuA_X15_I0+0+0+0], v[vgprValuB_X12_I0+4+3+0], a[16:31]
/*  mfmaIndex:47  */
_ds_load_b128 v[vgprValuB_X0_I0+4:vgprValuB_X0_I0+4+3], v[vgprLocalReadAddrB] offset:37376 // L -> Reg lro=0 swapByteOffset=32768 ti=32 vIdx=1 rIdx=0 oIdx=0 buffer=0 iui=0
_ds_load_b128 v[vgprValuB_X0_I0+8:vgprValuB_X0_I0+8+3], v[vgprLocalReadAddrB] offset:41984 // L -> Reg lro=0 swapByteOffset=32768 ti=32 vIdx=2 rIdx=0 oIdx=0 buffer=0 iui=0
v_mfma_i32_32x32x8i8 a[32+0:47+0], v[vgprValuA_X15_I0+0+0+0], v[vgprValuB_X12_I0+8+3+0], a[32:47]
/* numPrefetchIter=1 */
/* dataAtIterA=14 numReadsIterA=15 skipReadsIterA=1 readsPerIterA=4 */
/* dataAtIterB=2 numReadsIterB=3 skipReadsIterB=1 readsPerIterB=3 */


/******************************************/
/* Unrolled Loop - End 1/2                */
/******************************************/


/* closeLoop loopL finalLoop=0 tailLoop=0 */
s_sub_u32 s[sgprLoopCounterL], s[sgprLoopCounterL], 1 // dec counterL
s_cmp_eq_i32 s[sgprLoopCounterL], 0x1              // counterL==1
s_cbranch_scc1 LoopEndL_oddexit_3                  // exit LoopL


/******************************************/
/* Unrolled Loop 2/2 - Begin              */
/******************************************/

label_0016: // LoopCopy2 


/* Begin Each Unroll: Check VGPR.checkin for INT8 LW */


	;; [unrolled: 1-line block ×3, first 2 shown]
/* iter 0 */

/*  grEndMfmaIndex:6, lwStartMfmaIndex:37, lwEndMfmaIndex:43  */
/*  numMfmaForLR:2, barrierMfmaIndex:45 */
/*  mfmaIndex:0  */
_buffer_load_b128 v[vgprG2LA+0:vgprG2LA+0+3], v[vgprGlobalReadOffsetA+0], s[sgprSrdA:sgprSrdA+3], 0, offen offset:0 // G -> Reg 0_0_0_0
s_waitcnt lgkmcnt(0)                               // lgkmcnt=0 vmcnt=-1wait for prior local read local write old=0, new=0 newLW=0 newLR=0
/* pack scheduling: packAIdx:3, packBIdx:0 */
_v_lshl_or_b32 v[vgprValuA_X0_I0+0], v105, 0x8, v[vgprValuA_X0_I0+0] // pack two int8 Vgpr to one half Vgpr
_v_lshl_or_b32 v106, v107, 0x8, v106               // pack two int8 Vgpr to one half Vgpr
v_or_b32 v[vgprValuA_X0_I0+0], v[vgprValuA_X0_I0+0], v106 // pack two half Vgpr to one Vgpr
s_nop  1                                           // VALU packing writes to be consumed by matrix instruction
v_mfma_i32_32x32x8i8 a[0+0:15+0], v[vgprValuA_X0_I0+0+0+0], v[vgprValuB_X0_I0+0+0+0], a[0:15]
/*  mfmaIndex:1  */
_ds_load_u8 v[vgprValuA_X1_I0+0], v[vgprLocalReadAddrA] offset:33280 // L -> Reg lro=512 swapByteOffset=32768 ti=128 vIdx=0 rIdx=0 oIdx=0 buffer=1 iui=0
_ds_load_u8 v108, v[vgprLocalReadAddrA] offset:33408 // L -> Reg lro=512 swapByteOffset=32768 ti=128 vIdx=0 rIdx=1 oIdx=0 buffer=1 iui=0
_ds_load_u8_d16_hi v109, v[vgprLocalReadAddrA] offset:33536 // L -> Reg lro=512 swapByteOffset=32768 ti=128 vIdx=0 rIdx=2 oIdx=0 buffer=1 iui=0
_ds_load_u8_d16_hi v110, v[vgprLocalReadAddrA] offset:33664 // L -> Reg lro=512 swapByteOffset=32768 ti=128 vIdx=0 rIdx=3 oIdx=0 buffer=1 iui=0
_ds_load_b128 v[vgprValuB_X4_I0+0:vgprValuB_X4_I0+0+3], v[vgprLocalReadAddrB] offset:32800 // L -> Reg lro=32 swapByteOffset=32768 ti=32 vIdx=0 rIdx=0 oIdx=0 buffer=4 iui=0
_buffer_load_b128 v[vgprG2LA+4:vgprG2LA+4+3], v[vgprGlobalReadOffsetA+1], s[sgprSrdA:sgprSrdA+3], 0, offen offset:0 // G -> Reg 0_0_1_0
v_mfma_i32_32x32x8i8 a[16+0:31+0], v[vgprValuA_X0_I0+0+0+0], v[vgprValuB_X0_I0+4+0+0], a[16:31]
/*  mfmaIndex:2  */
_ds_load_b128 v[vgprValuB_X4_I0+4:vgprValuB_X4_I0+4+3], v[vgprLocalReadAddrB] offset:37408 // L -> Reg lro=32 swapByteOffset=32768 ti=32 vIdx=1 rIdx=0 oIdx=0 buffer=4 iui=0
_ds_load_b128 v[vgprValuB_X4_I0+8:vgprValuB_X4_I0+8+3], v[vgprLocalReadAddrB] offset:42016 // L -> Reg lro=32 swapByteOffset=32768 ti=32 vIdx=2 rIdx=0 oIdx=0 buffer=4 iui=0
/* localReadsVacancy: latencyLeft 5 */
_ds_load_u8 v[vgprValuA_X2_I0+0], v[vgprLocalReadAddrA] offset:33792 // L -> Reg lro=1024 swapByteOffset=32768 ti=128 vIdx=0 rIdx=0 oIdx=0 buffer=2 iui=0
_buffer_load_b128 v[vgprG2LA+8:vgprG2LA+8+3], v[vgprGlobalReadOffsetA+2], s[sgprSrdA:sgprSrdA+3], 0, offen offset:0 // G -> Reg 0_0_2_0
v_mfma_i32_32x32x8i8 a[32+0:47+0], v[vgprValuA_X0_I0+0+0+0], v[vgprValuB_X0_I0+8+0+0], a[32:47]
/* numPrefetchIter=0 */
/* dataAtIterA=-1 numReadsIterA=1 skipReadsIterA=1 readsPerIterA=4 */
/* dataAtIterB=-1 numReadsIterB=1 skipReadsIterB=1 readsPerIterB=3 */


/* iter 1 */

/*  grEndMfmaIndex:6, lwStartMfmaIndex:37, lwEndMfmaIndex:43  */
/*  numMfmaForLR:2, barrierMfmaIndex:45 */
/*  mfmaIndex:3  */
_ds_load_u8 v105, v[vgprLocalReadAddrA] offset:33920 // L -> Reg lro=1024 swapByteOffset=32768 ti=128 vIdx=0 rIdx=1 oIdx=0 buffer=2 iui=0
_ds_load_u8_d16_hi v106, v[vgprLocalReadAddrA] offset:34048 // L -> Reg lro=1024 swapByteOffset=32768 ti=128 vIdx=0 rIdx=2 oIdx=0 buffer=2 iui=0
_ds_load_u8_d16_hi v107, v[vgprLocalReadAddrA] offset:34176 // L -> Reg lro=1024 swapByteOffset=32768 ti=128 vIdx=0 rIdx=3 oIdx=0 buffer=2 iui=0
_ds_load_b128 v[vgprValuB_X8_I0+0:vgprValuB_X8_I0+0+3], v[vgprLocalReadAddrB] offset:32832 // L -> Reg lro=64 swapByteOffset=32768 ti=32 vIdx=0 rIdx=0 oIdx=0 buffer=8 iui=0
_buffer_load_b128 v[vgprG2LA+12:vgprG2LA+12+3], v[vgprGlobalReadOffsetA+3], s[sgprSrdA:sgprSrdA+3], 0, offen offset:0 // G -> Reg 0_0_3_0
s_waitcnt lgkmcnt(5)                               // lgkmcnt=0 vmcnt=-1wait for prior local read local write old=1, new=5 newLW=0 newLR=4
/* pack scheduling: packAIdx:3, packBIdx:0 */
_v_lshl_or_b32 v[vgprValuA_X1_I0+0], v108, 0x8, v[vgprValuA_X1_I0+0] // pack two int8 Vgpr to one half Vgpr
_v_lshl_or_b32 v109, v110, 0x8, v109               // pack two int8 Vgpr to one half Vgpr
v_or_b32 v[vgprValuA_X1_I0+0], v[vgprValuA_X1_I0+0], v109 // pack two half Vgpr to one Vgpr
s_nop  1                                           // VALU packing writes to be consumed by matrix instruction
v_mfma_i32_32x32x8i8 a[0+0:15+0], v[vgprValuA_X1_I0+0+0+0], v[vgprValuB_X0_I0+0+1+0], a[0:15]
/*  mfmaIndex:4  */
_ds_load_b128 v[vgprValuB_X8_I0+4:vgprValuB_X8_I0+4+3], v[vgprLocalReadAddrB] offset:37440 // L -> Reg lro=64 swapByteOffset=32768 ti=32 vIdx=1 rIdx=0 oIdx=0 buffer=8 iui=0
_ds_load_b128 v[vgprValuB_X8_I0+8:vgprValuB_X8_I0+8+3], v[vgprLocalReadAddrB] offset:42048 // L -> Reg lro=64 swapByteOffset=32768 ti=32 vIdx=2 rIdx=0 oIdx=0 buffer=8 iui=0
/* localReadsVacancy: latencyLeft 5 */
_ds_load_u8 v[vgprValuA_X3_I0+0], v[vgprLocalReadAddrA] offset:34304 // L -> Reg lro=1536 swapByteOffset=32768 ti=128 vIdx=0 rIdx=0 oIdx=0 buffer=3 iui=0
_buffer_load_b128 v[vgprG2LB+0:vgprG2LB+0+3], v[vgprGlobalReadOffsetB+0], s[sgprSrdB:sgprSrdB+3], 0, offen offset:0 // G -> Reg 0_0_0_0
v_mfma_i32_32x32x8i8 a[16+0:31+0], v[vgprValuA_X1_I0+0+0+0], v[vgprValuB_X0_I0+4+1+0], a[16:31]
/*  mfmaIndex:5  */
/* localReadsVacancy: latencyLeft 13 */
_ds_load_b128 v[vgprValuB_X12_I0+0:vgprValuB_X12_I0+0+3], v[vgprLocalReadAddrB] offset:32864 // L -> Reg lro=96 swapByteOffset=32768 ti=32 vIdx=0 rIdx=0 oIdx=0 buffer=12 iui=0
_ds_load_b128 v[vgprValuB_X12_I0+4:vgprValuB_X12_I0+4+3], v[vgprLocalReadAddrB] offset:37472 // L -> Reg lro=96 swapByteOffset=32768 ti=32 vIdx=1 rIdx=0 oIdx=0 buffer=12 iui=0
	;; [unrolled: 1-line block ×3, first 2 shown]
_buffer_load_b128 v[vgprG2LB+4:vgprG2LB+4+3], v[vgprGlobalReadOffsetB+1], s[sgprSrdB:sgprSrdB+3], 0, offen offset:0 // G -> Reg 0_0_1_0
v_mfma_i32_32x32x8i8 a[32+0:47+0], v[vgprValuA_X1_I0+0+0+0], v[vgprValuB_X0_I0+8+1+0], a[32:47]
/* numPrefetchIter=0 */
/* dataAtIterA=0 numReadsIterA=2 skipReadsIterA=1 readsPerIterA=4 */
/* dataAtIterB=-1 numReadsIterB=2 skipReadsIterB=0 readsPerIterB=3 */


/* iter 2 */

/*  grEndMfmaIndex:6, lwStartMfmaIndex:37, lwEndMfmaIndex:43  */
/*  numMfmaForLR:2, barrierMfmaIndex:45 */
/*  mfmaIndex:6  */
_ds_load_u8 v108, v[vgprLocalReadAddrA] offset:34432 // L -> Reg lro=1536 swapByteOffset=32768 ti=128 vIdx=0 rIdx=1 oIdx=0 buffer=3 iui=0
_ds_load_u8_d16_hi v109, v[vgprLocalReadAddrA] offset:34560 // L -> Reg lro=1536 swapByteOffset=32768 ti=128 vIdx=0 rIdx=2 oIdx=0 buffer=3 iui=0
_ds_load_u8_d16_hi v110, v[vgprLocalReadAddrA] offset:34688 // L -> Reg lro=1536 swapByteOffset=32768 ti=128 vIdx=0 rIdx=3 oIdx=0 buffer=3 iui=0
/* localReadsVacancy: latencyLeft 7 */
_ds_load_u8 v[vgprValuA_X4_I0+0], v[vgprLocalReadAddrA] offset:36864 // L -> Reg lro=4096 swapByteOffset=32768 ti=128 vIdx=0 rIdx=0 oIdx=0 buffer=4 iui=0
_ds_load_u8 v[vgprValuA_X5_I0+0], v[vgprLocalReadAddrA] offset:37376 // L -> Reg lro=4608 swapByteOffset=32768 ti=128 vIdx=0 rIdx=0 oIdx=0 buffer=5 iui=0
_ds_load_u8 v[vgprValuA_X6_I0+0], v[vgprLocalReadAddrA] offset:37888 // L -> Reg lro=5120 swapByteOffset=32768 ti=128 vIdx=0 rIdx=0 oIdx=0 buffer=6 iui=0
_buffer_load_b128 v[vgprG2LB+8:vgprG2LB+8+3], v[vgprGlobalReadOffsetB+2], s[sgprSrdB:sgprSrdB+3], 0, offen offset:0 // G -> Reg 0_0_2_0
s_waitcnt lgkmcnt(10)                              // lgkmcnt=0 vmcnt=-1wait for prior local read local write old=4, new=7 newLW=0 newLR=3
/* pack scheduling: packAIdx:3, packBIdx:0 */
_v_lshl_or_b32 v[vgprValuA_X2_I0+0], v105, 0x8, v[vgprValuA_X2_I0+0] // pack two int8 Vgpr to one half Vgpr
_v_lshl_or_b32 v106, v107, 0x8, v106               // pack two int8 Vgpr to one half Vgpr
v_or_b32 v[vgprValuA_X2_I0+0], v[vgprValuA_X2_I0+0], v106 // pack two half Vgpr to one Vgpr
s_nop  1                                           // VALU packing writes to be consumed by matrix instruction
v_mfma_i32_32x32x8i8 a[0+0:15+0], v[vgprValuA_X2_I0+0+0+0], v[vgprValuB_X0_I0+0+2+0], a[0:15]
/*  mfmaIndex:7  */
/* localReadsVacancy: latencyLeft 13 */
_ds_load_u8 v[vgprValuA_X7_I0+0], v[vgprLocalReadAddrA] offset:38400 // L -> Reg lro=5632 swapByteOffset=32768 ti=128 vIdx=0 rIdx=0 oIdx=0 buffer=7 iui=0
_ds_load_u8 v[vgprValuA_X8_I0+0], v[vgprLocalReadAddrA] offset:40960 // L -> Reg lro=8192 swapByteOffset=32768 ti=128 vIdx=0 rIdx=0 oIdx=0 buffer=8 iui=0
_ds_load_u8 v[vgprValuA_X9_I0+0], v[vgprLocalReadAddrA] offset:41472 // L -> Reg lro=8704 swapByteOffset=32768 ti=128 vIdx=0 rIdx=0 oIdx=0 buffer=9 iui=0
_ds_load_u8 v[vgprValuA_X10_I0+0], v[vgprLocalReadAddrA] offset:41984 // L -> Reg lro=9216 swapByteOffset=32768 ti=128 vIdx=0 rIdx=0 oIdx=0 buffer=10 iui=0
_ds_load_u8 v[vgprValuA_X11_I0+0], v[vgprLocalReadAddrA] offset:42496 // L -> Reg lro=9728 swapByteOffset=32768 ti=128 vIdx=0 rIdx=0 oIdx=0 buffer=11 iui=0
_ds_load_u8 v[vgprValuA_X12_I0+0], v[vgprLocalReadAddrA] offset:45056 // L -> Reg lro=12288 swapByteOffset=32768 ti=128 vIdx=0 rIdx=0 oIdx=0 buffer=12 iui=0

/* global read inc A loopL */
s_add_u32 s[sgprSrdA+0], s[sgprSrdA+0], s[sgprGlobalReadIncsA+0] // gra SRD += inc(lower)
s_addc_u32  s[sgprSrdA+1], s[sgprSrdA+1], 0        // gra SRD += inc(upper)
s_sub_u32 s[sgprShadowLimitA+0], s[sgprShadowLimitA+0], s[sgprGlobalReadIncsA+0] // limit -= inc)
s_subb_u32 s[sgprShadowLimitA+1], s[sgprShadowLimitA+1], 0 // limit -= inc)
s_cmp_eq_u32 s[sgprShadowLimitA+1], 0              // are we within 2^32?
s_cmov_b32 s[sgprSrdA+2], s[sgprShadowLimitA+0]    // Move shadow to real if we are within 2^32

/* global read inc B loopL */
s_add_u32 s[sgprSrdB+0], s[sgprSrdB+0], s[sgprGlobalReadIncsB+0] // gra SRD += inc(lower)
v_mfma_i32_32x32x8i8 a[16+0:31+0], v[vgprValuA_X2_I0+0+0+0], v[vgprValuB_X0_I0+4+2+0], a[16:31]
/*  mfmaIndex:8  */
/* localReadsVacancy: latencyLeft 13 */
_ds_load_u8 v[vgprValuA_X13_I0+0], v[vgprLocalReadAddrA] offset:45568 // L -> Reg lro=12800 swapByteOffset=32768 ti=128 vIdx=0 rIdx=0 oIdx=0 buffer=13 iui=0
_ds_load_u8 v[vgprValuA_X14_I0+0], v[vgprLocalReadAddrA] offset:46080 // L -> Reg lro=13312 swapByteOffset=32768 ti=128 vIdx=0 rIdx=0 oIdx=0 buffer=14 iui=0
_ds_load_u8 v[vgprValuA_X15_I0+0], v[vgprLocalReadAddrA] offset:46592 // L -> Reg lro=13824 swapByteOffset=32768 ti=128 vIdx=0 rIdx=0 oIdx=0 buffer=15 iui=0
s_addc_u32  s[sgprSrdB+1], s[sgprSrdB+1], 0        // gra SRD += inc(upper)
s_sub_u32 s[sgprShadowLimitB+0], s[sgprShadowLimitB+0], s[sgprGlobalReadIncsB+0] // limit -= inc)
s_subb_u32 s[sgprShadowLimitB+1], s[sgprShadowLimitB+1], 0 // limit -= inc)
s_cmp_eq_u32 s[sgprShadowLimitB+1], 0              // are we within 2^32?
s_cmov_b32 s[sgprSrdB+2], s[sgprShadowLimitB+0]    // Move shadow to real if we are within 2^32
v_mfma_i32_32x32x8i8 a[32+0:47+0], v[vgprValuA_X2_I0+0+0+0], v[vgprValuB_X0_I0+8+2+0], a[32:47]
/* numPrefetchIter=0 */
/* dataAtIterA=1 numReadsIterA=3 skipReadsIterA=1 readsPerIterA=4 */
/* dataAtIterB=-1 numReadsIterB=3 skipReadsIterB=0 readsPerIterB=3 */


/* iter 3 */

/*  grEndMfmaIndex:6, lwStartMfmaIndex:37, lwEndMfmaIndex:43  */
/*  numMfmaForLR:2, barrierMfmaIndex:45 */
/*  mfmaIndex:9  */
_ds_load_u8 v105, v[vgprLocalReadAddrA] offset:36992 // L -> Reg lro=4096 swapByteOffset=32768 ti=128 vIdx=0 rIdx=1 oIdx=0 buffer=4 iui=0
_ds_load_u8_d16_hi v106, v[vgprLocalReadAddrA] offset:37120 // L -> Reg lro=4096 swapByteOffset=32768 ti=128 vIdx=0 rIdx=2 oIdx=0 buffer=4 iui=0
_ds_load_u8_d16_hi v107, v[vgprLocalReadAddrA] offset:37248 // L -> Reg lro=4096 swapByteOffset=32768 ti=128 vIdx=0 rIdx=3 oIdx=0 buffer=4 iui=0
/* localReadsVacancy: latencyLeft 7 */
s_waitcnt lgkmcnt(15)                              // lgkmcnt=0 vmcnt=-1wait for prior local read local write old=1, new=4 newLW=0 newLR=3
/* pack scheduling: packAIdx:3, packBIdx:0 */
_v_lshl_or_b32 v[vgprValuA_X3_I0+0], v108, 0x8, v[vgprValuA_X3_I0+0] // pack two int8 Vgpr to one half Vgpr
_v_lshl_or_b32 v109, v110, 0x8, v109               // pack two int8 Vgpr to one half Vgpr
v_or_b32 v[vgprValuA_X3_I0+0], v[vgprValuA_X3_I0+0], v109 // pack two half Vgpr to one Vgpr
s_nop  1                                           // VALU packing writes to be consumed by matrix instruction
v_mfma_i32_32x32x8i8 a[0+0:15+0], v[vgprValuA_X3_I0+0+0+0], v[vgprValuB_X0_I0+0+3+0], a[0:15]
/*  mfmaIndex:10  */
/* localReadsVacancy: latencyLeft 13 */
v_mfma_i32_32x32x8i8 a[16+0:31+0], v[vgprValuA_X3_I0+0+0+0], v[vgprValuB_X0_I0+4+3+0], a[16:31]
/*  mfmaIndex:11  */
/* localReadsVacancy: latencyLeft 13 */
v_mfma_i32_32x32x8i8 a[32+0:47+0], v[vgprValuA_X3_I0+0+0+0], v[vgprValuB_X0_I0+8+3+0], a[32:47]
/* numPrefetchIter=0 */
/* dataAtIterA=2 numReadsIterA=4 skipReadsIterA=1 readsPerIterA=4 */
/* dataAtIterB=-1 numReadsIterB=3 skipReadsIterB=0 readsPerIterB=3 */


/* iter 4 */

/*  grEndMfmaIndex:6, lwStartMfmaIndex:37, lwEndMfmaIndex:43  */
/*  numMfmaForLR:2, barrierMfmaIndex:45 */
/*  mfmaIndex:12  */
_ds_load_u8 v108, v[vgprLocalReadAddrA] offset:37504 // L -> Reg lro=4608 swapByteOffset=32768 ti=128 vIdx=0 rIdx=1 oIdx=0 buffer=5 iui=0
_ds_load_u8_d16_hi v109, v[vgprLocalReadAddrA] offset:37632 // L -> Reg lro=4608 swapByteOffset=32768 ti=128 vIdx=0 rIdx=2 oIdx=0 buffer=5 iui=0
_ds_load_u8_d16_hi v110, v[vgprLocalReadAddrA] offset:37760 // L -> Reg lro=4608 swapByteOffset=32768 ti=128 vIdx=0 rIdx=3 oIdx=0 buffer=5 iui=0
/* localReadsVacancy: latencyLeft 7 */
s_waitcnt lgkmcnt(3)                               // lgkmcnt=0 vmcnt=-1wait for prior local read local write old=0, new=3 newLW=0 newLR=3
/* pack scheduling: packAIdx:3, packBIdx:0 */
_v_lshl_or_b32 v[vgprValuA_X4_I0+0], v105, 0x8, v[vgprValuA_X4_I0+0] // pack two int8 Vgpr to one half Vgpr
_v_lshl_or_b32 v106, v107, 0x8, v106               // pack two int8 Vgpr to one half Vgpr
v_or_b32 v[vgprValuA_X4_I0+0], v[vgprValuA_X4_I0+0], v106 // pack two half Vgpr to one Vgpr
s_nop  1                                           // VALU packing writes to be consumed by matrix instruction
v_mfma_i32_32x32x8i8 a[0+0:15+0], v[vgprValuA_X4_I0+0+0+0], v[vgprValuB_X4_I0+0+0+0], a[0:15]
/*  mfmaIndex:13  */
/* localReadsVacancy: latencyLeft 13 */
v_mfma_i32_32x32x8i8 a[16+0:31+0], v[vgprValuA_X4_I0+0+0+0], v[vgprValuB_X4_I0+4+0+0], a[16:31]
/*  mfmaIndex:14  */
/* localReadsVacancy: latencyLeft 13 */
v_mfma_i32_32x32x8i8 a[32+0:47+0], v[vgprValuA_X4_I0+0+0+0], v[vgprValuB_X4_I0+8+0+0], a[32:47]
/* numPrefetchIter=0 */
/* dataAtIterA=3 numReadsIterA=5 skipReadsIterA=1 readsPerIterA=4 */
/* dataAtIterB=0 numReadsIterB=3 skipReadsIterB=0 readsPerIterB=3 */


/* iter 5 */

/*  grEndMfmaIndex:6, lwStartMfmaIndex:37, lwEndMfmaIndex:43  */
/*  numMfmaForLR:2, barrierMfmaIndex:45 */
/*  mfmaIndex:15  */
_ds_load_u8 v105, v[vgprLocalReadAddrA] offset:38016 // L -> Reg lro=5120 swapByteOffset=32768 ti=128 vIdx=0 rIdx=1 oIdx=0 buffer=6 iui=0
_ds_load_u8_d16_hi v106, v[vgprLocalReadAddrA] offset:38144 // L -> Reg lro=5120 swapByteOffset=32768 ti=128 vIdx=0 rIdx=2 oIdx=0 buffer=6 iui=0
_ds_load_u8_d16_hi v107, v[vgprLocalReadAddrA] offset:38272 // L -> Reg lro=5120 swapByteOffset=32768 ti=128 vIdx=0 rIdx=3 oIdx=0 buffer=6 iui=0
/* localReadsVacancy: latencyLeft 7 */
s_waitcnt lgkmcnt(3)                               // lgkmcnt=0 vmcnt=-1wait for prior local read local write old=0, new=3 newLW=0 newLR=3
/* pack scheduling: packAIdx:3, packBIdx:0 */
_v_lshl_or_b32 v[vgprValuA_X5_I0+0], v108, 0x8, v[vgprValuA_X5_I0+0] // pack two int8 Vgpr to one half Vgpr
_v_lshl_or_b32 v109, v110, 0x8, v109               // pack two int8 Vgpr to one half Vgpr
v_or_b32 v[vgprValuA_X5_I0+0], v[vgprValuA_X5_I0+0], v109 // pack two half Vgpr to one Vgpr
s_nop  1                                           // VALU packing writes to be consumed by matrix instruction
v_mfma_i32_32x32x8i8 a[0+0:15+0], v[vgprValuA_X5_I0+0+0+0], v[vgprValuB_X4_I0+0+1+0], a[0:15]
/*  mfmaIndex:16  */
/* localReadsVacancy: latencyLeft 13 */
v_mfma_i32_32x32x8i8 a[16+0:31+0], v[vgprValuA_X5_I0+0+0+0], v[vgprValuB_X4_I0+4+1+0], a[16:31]
/*  mfmaIndex:17  */
/* localReadsVacancy: latencyLeft 13 */
v_mfma_i32_32x32x8i8 a[32+0:47+0], v[vgprValuA_X5_I0+0+0+0], v[vgprValuB_X4_I0+8+1+0], a[32:47]
/* numPrefetchIter=0 */
/* dataAtIterA=4 numReadsIterA=6 skipReadsIterA=1 readsPerIterA=4 */
/* dataAtIterB=0 numReadsIterB=3 skipReadsIterB=0 readsPerIterB=3 */


/* iter 6 */

/*  grEndMfmaIndex:6, lwStartMfmaIndex:37, lwEndMfmaIndex:43  */
/*  numMfmaForLR:2, barrierMfmaIndex:45 */
/*  mfmaIndex:18  */
_ds_load_u8 v108, v[vgprLocalReadAddrA] offset:38528 // L -> Reg lro=5632 swapByteOffset=32768 ti=128 vIdx=0 rIdx=1 oIdx=0 buffer=7 iui=0
_ds_load_u8_d16_hi v109, v[vgprLocalReadAddrA] offset:38656 // L -> Reg lro=5632 swapByteOffset=32768 ti=128 vIdx=0 rIdx=2 oIdx=0 buffer=7 iui=0
_ds_load_u8_d16_hi v110, v[vgprLocalReadAddrA] offset:38784 // L -> Reg lro=5632 swapByteOffset=32768 ti=128 vIdx=0 rIdx=3 oIdx=0 buffer=7 iui=0
/* localReadsVacancy: latencyLeft 7 */
s_waitcnt lgkmcnt(3)                               // lgkmcnt=0 vmcnt=-1wait for prior local read local write old=0, new=3 newLW=0 newLR=3
/* pack scheduling: packAIdx:3, packBIdx:0 */
_v_lshl_or_b32 v[vgprValuA_X6_I0+0], v105, 0x8, v[vgprValuA_X6_I0+0] // pack two int8 Vgpr to one half Vgpr
_v_lshl_or_b32 v106, v107, 0x8, v106               // pack two int8 Vgpr to one half Vgpr
v_or_b32 v[vgprValuA_X6_I0+0], v[vgprValuA_X6_I0+0], v106 // pack two half Vgpr to one Vgpr
s_nop  1                                           // VALU packing writes to be consumed by matrix instruction
v_mfma_i32_32x32x8i8 a[0+0:15+0], v[vgprValuA_X6_I0+0+0+0], v[vgprValuB_X4_I0+0+2+0], a[0:15]
/*  mfmaIndex:19  */
/* localReadsVacancy: latencyLeft 13 */
v_mfma_i32_32x32x8i8 a[16+0:31+0], v[vgprValuA_X6_I0+0+0+0], v[vgprValuB_X4_I0+4+2+0], a[16:31]
/*  mfmaIndex:20  */
/* localReadsVacancy: latencyLeft 13 */
v_mfma_i32_32x32x8i8 a[32+0:47+0], v[vgprValuA_X6_I0+0+0+0], v[vgprValuB_X4_I0+8+2+0], a[32:47]
/* numPrefetchIter=0 */
/* dataAtIterA=5 numReadsIterA=7 skipReadsIterA=1 readsPerIterA=4 */
/* dataAtIterB=0 numReadsIterB=3 skipReadsIterB=0 readsPerIterB=3 */


/* iter 7 */

/*  grEndMfmaIndex:6, lwStartMfmaIndex:37, lwEndMfmaIndex:43  */
/*  numMfmaForLR:2, barrierMfmaIndex:45 */
/*  mfmaIndex:21  */
_ds_load_u8 v105, v[vgprLocalReadAddrA] offset:41088 // L -> Reg lro=8192 swapByteOffset=32768 ti=128 vIdx=0 rIdx=1 oIdx=0 buffer=8 iui=0
_ds_load_u8_d16_hi v106, v[vgprLocalReadAddrA] offset:41216 // L -> Reg lro=8192 swapByteOffset=32768 ti=128 vIdx=0 rIdx=2 oIdx=0 buffer=8 iui=0
_ds_load_u8_d16_hi v107, v[vgprLocalReadAddrA] offset:41344 // L -> Reg lro=8192 swapByteOffset=32768 ti=128 vIdx=0 rIdx=3 oIdx=0 buffer=8 iui=0
/* localReadsVacancy: latencyLeft 7 */
s_waitcnt lgkmcnt(3)                               // lgkmcnt=0 vmcnt=-1wait for prior local read local write old=0, new=3 newLW=0 newLR=3
/* pack scheduling: packAIdx:3, packBIdx:0 */
_v_lshl_or_b32 v[vgprValuA_X7_I0+0], v108, 0x8, v[vgprValuA_X7_I0+0] // pack two int8 Vgpr to one half Vgpr
_v_lshl_or_b32 v109, v110, 0x8, v109               // pack two int8 Vgpr to one half Vgpr
v_or_b32 v[vgprValuA_X7_I0+0], v[vgprValuA_X7_I0+0], v109 // pack two half Vgpr to one Vgpr
s_nop  1                                           // VALU packing writes to be consumed by matrix instruction
v_mfma_i32_32x32x8i8 a[0+0:15+0], v[vgprValuA_X7_I0+0+0+0], v[vgprValuB_X4_I0+0+3+0], a[0:15]
/*  mfmaIndex:22  */
/* localReadsVacancy: latencyLeft 13 */
v_mfma_i32_32x32x8i8 a[16+0:31+0], v[vgprValuA_X7_I0+0+0+0], v[vgprValuB_X4_I0+4+3+0], a[16:31]
/*  mfmaIndex:23  */
/* localReadsVacancy: latencyLeft 13 */
v_mfma_i32_32x32x8i8 a[32+0:47+0], v[vgprValuA_X7_I0+0+0+0], v[vgprValuB_X4_I0+8+3+0], a[32:47]
/* numPrefetchIter=0 */
/* dataAtIterA=6 numReadsIterA=8 skipReadsIterA=1 readsPerIterA=4 */
/* dataAtIterB=0 numReadsIterB=3 skipReadsIterB=0 readsPerIterB=3 */


/* iter 8 */

/*  grEndMfmaIndex:6, lwStartMfmaIndex:37, lwEndMfmaIndex:43  */
/*  numMfmaForLR:2, barrierMfmaIndex:45 */
/*  mfmaIndex:24  */
_ds_load_u8 v108, v[vgprLocalReadAddrA] offset:41600 // L -> Reg lro=8704 swapByteOffset=32768 ti=128 vIdx=0 rIdx=1 oIdx=0 buffer=9 iui=0
_ds_load_u8_d16_hi v109, v[vgprLocalReadAddrA] offset:41728 // L -> Reg lro=8704 swapByteOffset=32768 ti=128 vIdx=0 rIdx=2 oIdx=0 buffer=9 iui=0
_ds_load_u8_d16_hi v110, v[vgprLocalReadAddrA] offset:41856 // L -> Reg lro=8704 swapByteOffset=32768 ti=128 vIdx=0 rIdx=3 oIdx=0 buffer=9 iui=0
/* localReadsVacancy: latencyLeft 7 */
s_waitcnt lgkmcnt(3)                               // lgkmcnt=0 vmcnt=-1wait for prior local read local write old=0, new=3 newLW=0 newLR=3
/* pack scheduling: packAIdx:3, packBIdx:0 */
_v_lshl_or_b32 v[vgprValuA_X8_I0+0], v105, 0x8, v[vgprValuA_X8_I0+0] // pack two int8 Vgpr to one half Vgpr
_v_lshl_or_b32 v106, v107, 0x8, v106               // pack two int8 Vgpr to one half Vgpr
v_or_b32 v[vgprValuA_X8_I0+0], v[vgprValuA_X8_I0+0], v106 // pack two half Vgpr to one Vgpr
s_nop  1                                           // VALU packing writes to be consumed by matrix instruction
v_mfma_i32_32x32x8i8 a[0+0:15+0], v[vgprValuA_X8_I0+0+0+0], v[vgprValuB_X8_I0+0+0+0], a[0:15]
/*  mfmaIndex:25  */
/* localReadsVacancy: latencyLeft 13 */
v_mfma_i32_32x32x8i8 a[16+0:31+0], v[vgprValuA_X8_I0+0+0+0], v[vgprValuB_X8_I0+4+0+0], a[16:31]
/*  mfmaIndex:26  */
/* localReadsVacancy: latencyLeft 13 */
v_mfma_i32_32x32x8i8 a[32+0:47+0], v[vgprValuA_X8_I0+0+0+0], v[vgprValuB_X8_I0+8+0+0], a[32:47]
/* numPrefetchIter=0 */
/* dataAtIterA=7 numReadsIterA=9 skipReadsIterA=1 readsPerIterA=4 */
/* dataAtIterB=1 numReadsIterB=3 skipReadsIterB=0 readsPerIterB=3 */


/* iter 9 */

/*  grEndMfmaIndex:6, lwStartMfmaIndex:37, lwEndMfmaIndex:43  */
/*  numMfmaForLR:2, barrierMfmaIndex:45 */
/*  mfmaIndex:27  */
_ds_load_u8 v105, v[vgprLocalReadAddrA] offset:42112 // L -> Reg lro=9216 swapByteOffset=32768 ti=128 vIdx=0 rIdx=1 oIdx=0 buffer=10 iui=0
_ds_load_u8_d16_hi v106, v[vgprLocalReadAddrA] offset:42240 // L -> Reg lro=9216 swapByteOffset=32768 ti=128 vIdx=0 rIdx=2 oIdx=0 buffer=10 iui=0
_ds_load_u8_d16_hi v107, v[vgprLocalReadAddrA] offset:42368 // L -> Reg lro=9216 swapByteOffset=32768 ti=128 vIdx=0 rIdx=3 oIdx=0 buffer=10 iui=0
/* localReadsVacancy: latencyLeft 7 */
s_waitcnt lgkmcnt(3)                               // lgkmcnt=0 vmcnt=-1wait for prior local read local write old=0, new=3 newLW=0 newLR=3
/* pack scheduling: packAIdx:3, packBIdx:0 */
_v_lshl_or_b32 v[vgprValuA_X9_I0+0], v108, 0x8, v[vgprValuA_X9_I0+0] // pack two int8 Vgpr to one half Vgpr
_v_lshl_or_b32 v109, v110, 0x8, v109               // pack two int8 Vgpr to one half Vgpr
v_or_b32 v[vgprValuA_X9_I0+0], v[vgprValuA_X9_I0+0], v109 // pack two half Vgpr to one Vgpr
s_nop  1                                           // VALU packing writes to be consumed by matrix instruction
v_mfma_i32_32x32x8i8 a[0+0:15+0], v[vgprValuA_X9_I0+0+0+0], v[vgprValuB_X8_I0+0+1+0], a[0:15]
/*  mfmaIndex:28  */
/* localReadsVacancy: latencyLeft 13 */
v_mfma_i32_32x32x8i8 a[16+0:31+0], v[vgprValuA_X9_I0+0+0+0], v[vgprValuB_X8_I0+4+1+0], a[16:31]
/*  mfmaIndex:29  */
/* localReadsVacancy: latencyLeft 13 */
v_mfma_i32_32x32x8i8 a[32+0:47+0], v[vgprValuA_X9_I0+0+0+0], v[vgprValuB_X8_I0+8+1+0], a[32:47]
/* numPrefetchIter=0 */
/* dataAtIterA=8 numReadsIterA=10 skipReadsIterA=1 readsPerIterA=4 */
/* dataAtIterB=1 numReadsIterB=3 skipReadsIterB=0 readsPerIterB=3 */


/* iter 10 */

/*  grEndMfmaIndex:6, lwStartMfmaIndex:37, lwEndMfmaIndex:43  */
/*  numMfmaForLR:2, barrierMfmaIndex:45 */
/*  mfmaIndex:30  */
_ds_load_u8 v108, v[vgprLocalReadAddrA] offset:42624 // L -> Reg lro=9728 swapByteOffset=32768 ti=128 vIdx=0 rIdx=1 oIdx=0 buffer=11 iui=0
_ds_load_u8_d16_hi v109, v[vgprLocalReadAddrA] offset:42752 // L -> Reg lro=9728 swapByteOffset=32768 ti=128 vIdx=0 rIdx=2 oIdx=0 buffer=11 iui=0
_ds_load_u8_d16_hi v110, v[vgprLocalReadAddrA] offset:42880 // L -> Reg lro=9728 swapByteOffset=32768 ti=128 vIdx=0 rIdx=3 oIdx=0 buffer=11 iui=0
/* localReadsVacancy: latencyLeft 7 */
s_waitcnt lgkmcnt(3)                               // lgkmcnt=0 vmcnt=-1wait for prior local read local write old=0, new=3 newLW=0 newLR=3
/* pack scheduling: packAIdx:3, packBIdx:0 */
_v_lshl_or_b32 v[vgprValuA_X10_I0+0], v105, 0x8, v[vgprValuA_X10_I0+0] // pack two int8 Vgpr to one half Vgpr
_v_lshl_or_b32 v106, v107, 0x8, v106               // pack two int8 Vgpr to one half Vgpr
v_or_b32 v[vgprValuA_X10_I0+0], v[vgprValuA_X10_I0+0], v106 // pack two half Vgpr to one Vgpr
s_nop  1                                           // VALU packing writes to be consumed by matrix instruction
v_mfma_i32_32x32x8i8 a[0+0:15+0], v[vgprValuA_X10_I0+0+0+0], v[vgprValuB_X8_I0+0+2+0], a[0:15]
/*  mfmaIndex:31  */
/* localReadsVacancy: latencyLeft 13 */
v_mfma_i32_32x32x8i8 a[16+0:31+0], v[vgprValuA_X10_I0+0+0+0], v[vgprValuB_X8_I0+4+2+0], a[16:31]
/*  mfmaIndex:32  */
/* localReadsVacancy: latencyLeft 13 */
v_mfma_i32_32x32x8i8 a[32+0:47+0], v[vgprValuA_X10_I0+0+0+0], v[vgprValuB_X8_I0+8+2+0], a[32:47]
/* numPrefetchIter=0 */
/* dataAtIterA=9 numReadsIterA=11 skipReadsIterA=1 readsPerIterA=4 */
/* dataAtIterB=1 numReadsIterB=3 skipReadsIterB=0 readsPerIterB=3 */


/* iter 11 */

/*  grEndMfmaIndex:6, lwStartMfmaIndex:37, lwEndMfmaIndex:43  */
/*  numMfmaForLR:2, barrierMfmaIndex:45 */
/*  mfmaIndex:33  */
_ds_load_u8 v105, v[vgprLocalReadAddrA] offset:45184 // L -> Reg lro=12288 swapByteOffset=32768 ti=128 vIdx=0 rIdx=1 oIdx=0 buffer=12 iui=0
_ds_load_u8_d16_hi v106, v[vgprLocalReadAddrA] offset:45312 // L -> Reg lro=12288 swapByteOffset=32768 ti=128 vIdx=0 rIdx=2 oIdx=0 buffer=12 iui=0
_ds_load_u8_d16_hi v107, v[vgprLocalReadAddrA] offset:45440 // L -> Reg lro=12288 swapByteOffset=32768 ti=128 vIdx=0 rIdx=3 oIdx=0 buffer=12 iui=0
/* localReadsVacancy: latencyLeft 7 */
s_waitcnt lgkmcnt(3)                               // lgkmcnt=0 vmcnt=-1wait for prior local read local write old=0, new=3 newLW=0 newLR=3
/* pack scheduling: packAIdx:3, packBIdx:0 */
_v_lshl_or_b32 v[vgprValuA_X11_I0+0], v108, 0x8, v[vgprValuA_X11_I0+0] // pack two int8 Vgpr to one half Vgpr
_v_lshl_or_b32 v109, v110, 0x8, v109               // pack two int8 Vgpr to one half Vgpr
v_or_b32 v[vgprValuA_X11_I0+0], v[vgprValuA_X11_I0+0], v109 // pack two half Vgpr to one Vgpr
s_nop  1                                           // VALU packing writes to be consumed by matrix instruction
v_mfma_i32_32x32x8i8 a[0+0:15+0], v[vgprValuA_X11_I0+0+0+0], v[vgprValuB_X8_I0+0+3+0], a[0:15]
/*  mfmaIndex:34  */
/* localReadsVacancy: latencyLeft 13 */
v_mfma_i32_32x32x8i8 a[16+0:31+0], v[vgprValuA_X11_I0+0+0+0], v[vgprValuB_X8_I0+4+3+0], a[16:31]
/*  mfmaIndex:35  */
/* localReadsVacancy: latencyLeft 13 */
v_mfma_i32_32x32x8i8 a[32+0:47+0], v[vgprValuA_X11_I0+0+0+0], v[vgprValuB_X8_I0+8+3+0], a[32:47]
/* numPrefetchIter=0 */
/* dataAtIterA=10 numReadsIterA=12 skipReadsIterA=1 readsPerIterA=4 */
/* dataAtIterB=1 numReadsIterB=3 skipReadsIterB=0 readsPerIterB=3 */


/* iter 12 */

/*  grEndMfmaIndex:6, lwStartMfmaIndex:37, lwEndMfmaIndex:43  */
/*  numMfmaForLR:2, barrierMfmaIndex:45 */
/*  mfmaIndex:36  */
_ds_load_u8 v108, v[vgprLocalReadAddrA] offset:45696 // L -> Reg lro=12800 swapByteOffset=32768 ti=128 vIdx=0 rIdx=1 oIdx=0 buffer=13 iui=0
_ds_load_u8_d16_hi v109, v[vgprLocalReadAddrA] offset:45824 // L -> Reg lro=12800 swapByteOffset=32768 ti=128 vIdx=0 rIdx=2 oIdx=0 buffer=13 iui=0
_ds_load_u8_d16_hi v110, v[vgprLocalReadAddrA] offset:45952 // L -> Reg lro=12800 swapByteOffset=32768 ti=128 vIdx=0 rIdx=3 oIdx=0 buffer=13 iui=0
/* localReadsVacancy: latencyLeft 7 */
s_waitcnt lgkmcnt(3)                               // lgkmcnt=0 vmcnt=-1wait for prior local read local write old=0, new=3 newLW=0 newLR=3
/* pack scheduling: packAIdx:3, packBIdx:0 */
_v_lshl_or_b32 v[vgprValuA_X12_I0+0], v105, 0x8, v[vgprValuA_X12_I0+0] // pack two int8 Vgpr to one half Vgpr
_v_lshl_or_b32 v106, v107, 0x8, v106               // pack two int8 Vgpr to one half Vgpr
v_or_b32 v[vgprValuA_X12_I0+0], v[vgprValuA_X12_I0+0], v106 // pack two half Vgpr to one Vgpr
s_nop  1                                           // VALU packing writes to be consumed by matrix instruction
v_mfma_i32_32x32x8i8 a[0+0:15+0], v[vgprValuA_X12_I0+0+0+0], v[vgprValuB_X12_I0+0+0+0], a[0:15]
/*  mfmaIndex:37  */
/* localReadsVacancy: latencyLeft 3 */
/* sched write - iter 12 writesPerItem=1 */
s_waitcnt vmcnt(0)                                 // lgkmcnt=-1 vmcnt=0wait for global read before writing to local
_ds_store_b128 v[vgprLocalWriteAddrA], v[vgprG2LA+0:vgprG2LA+0+3] offset:0 // lwoA_0_0_0_0 = (0*LSCA) + (0*LSPA)(*MT0I+PAD) = 0
v_mfma_i32_32x32x8i8 a[16+0:31+0], v[vgprValuA_X12_I0+0+0+0], v[vgprValuB_X12_I0+4+0+0], a[16:31]
/*  mfmaIndex:38  */
/* localReadsVacancy: latencyLeft 3 */
/* sched write - iter 12 writesPerItem=1 */
s_waitcnt vmcnt(0)                                 // lgkmcnt=-1 vmcnt=0wait for global read before writing to local
_ds_store_b128 v[vgprLocalWriteAddrA], v[vgprG2LA+4:vgprG2LA+4+3] offset:1024 // lwoA_0_0_1_0 = (0*LSCA) + (1*LSPA)(*MT0I+PAD) = 1024
v_mfma_i32_32x32x8i8 a[32+0:47+0], v[vgprValuA_X12_I0+0+0+0], v[vgprValuB_X12_I0+8+0+0], a[32:47]
/* numPrefetchIter=0 */
/* dataAtIterA=11 numReadsIterA=13 skipReadsIterA=1 readsPerIterA=4 */
/* dataAtIterB=2 numReadsIterB=3 skipReadsIterB=0 readsPerIterB=3 */


/* iter 13 */

/*  grEndMfmaIndex:6, lwStartMfmaIndex:37, lwEndMfmaIndex:43  */
/*  numMfmaForLR:2, barrierMfmaIndex:45 */
/*  mfmaIndex:39  */
_ds_load_u8 v105, v[vgprLocalReadAddrA] offset:46208 // L -> Reg lro=13312 swapByteOffset=32768 ti=128 vIdx=0 rIdx=1 oIdx=0 buffer=14 iui=0
/* sched write - iter 13 writesPerItem=1 */
s_waitcnt vmcnt(0)                                 // lgkmcnt=-1 vmcnt=0wait for global read before writing to local
_ds_store_b128 v[vgprLocalWriteAddrA], v[vgprG2LA+8:vgprG2LA+8+3] offset:2048 // lwoA_0_0_2_0 = (0*LSCA) + (2*LSPA)(*MT0I+PAD) = 2048
s_waitcnt lgkmcnt(4)                               // lgkmcnt=0 vmcnt=-1wait for prior local read local write old=0, new=4 newLW=3 newLR=1
/* pack scheduling: packAIdx:3, packBIdx:0 */
_v_lshl_or_b32 v[vgprValuA_X13_I0+0], v108, 0x8, v[vgprValuA_X13_I0+0] // pack two int8 Vgpr to one half Vgpr
_v_lshl_or_b32 v109, v110, 0x8, v109               // pack two int8 Vgpr to one half Vgpr
v_or_b32 v[vgprValuA_X13_I0+0], v[vgprValuA_X13_I0+0], v109 // pack two half Vgpr to one Vgpr
s_nop  1                                           // VALU packing writes to be consumed by matrix instruction
v_mfma_i32_32x32x8i8 a[0+0:15+0], v[vgprValuA_X13_I0+0+0+0], v[vgprValuB_X12_I0+0+1+0], a[0:15]
/*  mfmaIndex:40  */
_ds_load_u8_d16_hi v106, v[vgprLocalReadAddrA] offset:46336 // L -> Reg lro=13312 swapByteOffset=32768 ti=128 vIdx=0 rIdx=2 oIdx=0 buffer=14 iui=0
/* sched write - iter 13 writesPerItem=1 */
s_waitcnt vmcnt(0)                                 // lgkmcnt=-1 vmcnt=0wait for global read before writing to local
_ds_store_b128 v[vgprLocalWriteAddrA], v[vgprG2LA+12:vgprG2LA+12+3] offset:3072 // lwoA_0_0_3_0 = (0*LSCA) + (3*LSPA)(*MT0I+PAD) = 3072
v_mfma_i32_32x32x8i8 a[16+0:31+0], v[vgprValuA_X13_I0+0+0+0], v[vgprValuB_X12_I0+4+1+0], a[16:31]
/*  mfmaIndex:41  */
_ds_load_u8_d16_hi v107, v[vgprLocalReadAddrA] offset:46464 // L -> Reg lro=13312 swapByteOffset=32768 ti=128 vIdx=0 rIdx=3 oIdx=0 buffer=14 iui=0
/* localReadsVacancy: latencyLeft 1 */
/* sched write - iter 13 writesPerItem=1 */
s_waitcnt vmcnt(0)                                 // lgkmcnt=-1 vmcnt=0wait for global read before writing to local
_ds_store_b128 v[vgprLocalWriteAddrB], v[vgprG2LB+0:vgprG2LB+0+3] offset:0 // lwoB_0_0_0_0 = (0*LSCB)*(MT1J+PAD) + (0*LSPB) = 0
v_mfma_i32_32x32x8i8 a[32+0:47+0], v[vgprValuA_X13_I0+0+0+0], v[vgprValuB_X12_I0+8+1+0], a[32:47]
/* numPrefetchIter=0 */
/* dataAtIterA=12 numReadsIterA=14 skipReadsIterA=1 readsPerIterA=4 */
/* dataAtIterB=2 numReadsIterB=3 skipReadsIterB=0 readsPerIterB=3 */


/* iter 14 (reset local read pointers iteration)  (swap and reset local write pointers iteration)  (swap local read pointers iteration)  */

/*  grEndMfmaIndex:6, lwStartMfmaIndex:37, lwEndMfmaIndex:43  */
/*  numMfmaForLR:2, barrierMfmaIndex:45 */
/*  mfmaIndex:42  */
_ds_load_u8 v108, v[vgprLocalReadAddrA] offset:46720 // L -> Reg lro=13824 swapByteOffset=32768 ti=128 vIdx=0 rIdx=1 oIdx=0 buffer=15 iui=0
/* sched write - iter 14 writesPerItem=1 */
s_waitcnt vmcnt(0)                                 // lgkmcnt=-1 vmcnt=0wait for global read before writing to local
_ds_store_b128 v[vgprLocalWriteAddrB], v[vgprG2LB+4:vgprG2LB+4+3] offset:1152 // lwoB_0_0_1_0 = (0*LSCB)*(MT1J+PAD) + (1*LSPB) = 1152
s_waitcnt lgkmcnt(3)                               // lgkmcnt=0 vmcnt=-1wait for prior local read local write old=0, new=3 newLW=2 newLR=1
/* pack scheduling: packAIdx:3, packBIdx:0 */
_v_lshl_or_b32 v[vgprValuA_X14_I0+0], v105, 0x8, v[vgprValuA_X14_I0+0] // pack two int8 Vgpr to one half Vgpr
_v_lshl_or_b32 v106, v107, 0x8, v106               // pack two int8 Vgpr to one half Vgpr
v_or_b32 v[vgprValuA_X14_I0+0], v[vgprValuA_X14_I0+0], v106 // pack two half Vgpr to one Vgpr
s_nop  1                                           // VALU packing writes to be consumed by matrix instruction
v_mfma_i32_32x32x8i8 a[0+0:15+0], v[vgprValuA_X14_I0+0+0+0], v[vgprValuB_X12_I0+0+2+0], a[0:15]
/*  mfmaIndex:43  */
_ds_load_u8_d16_hi v109, v[vgprLocalReadAddrA] offset:46848 // L -> Reg lro=13824 swapByteOffset=32768 ti=128 vIdx=0 rIdx=2 oIdx=0 buffer=15 iui=0
/* sched write - iter 14 writesPerItem=1 */
s_waitcnt vmcnt(0)                                 // lgkmcnt=-1 vmcnt=0wait for global read before writing to local
_ds_store_b128 v[vgprLocalWriteAddrB], v[vgprG2LB+8:vgprG2LB+8+3] offset:2304 // lwoB_0_0_2_0 = (0*LSCB)*(MT1J+PAD) + (2*LSPB) = 2304

/* local write swap offsets a */

/* (EPS=1) local write swap internal offset -> 32768 */

/* local write swap offsets b */

/* (EPS=1) local write swap internal offset -> 32768 */
v_mfma_i32_32x32x8i8 a[16+0:31+0], v[vgprValuA_X14_I0+0+0+0], v[vgprValuB_X12_I0+4+2+0], a[16:31]
/*  mfmaIndex:44  */
_ds_load_u8_d16_hi v110, v[vgprLocalReadAddrA] offset:46976 // L -> Reg lro=13824 swapByteOffset=32768 ti=128 vIdx=0 rIdx=3 oIdx=0 buffer=15 iui=0
/* localReadsVacancy: latencyLeft 11 */

/* local read swap offsets a */

/* local read swap internal offset -> 0 */

/* local read swap offsets b */

/* local read swap internal offset -> 0 */

/* local read init pointers a */

/* localReadInitPointers */

/* local read init pointers b */

/* localReadInitPointers */
v_mfma_i32_32x32x8i8 a[32+0:47+0], v[vgprValuA_X14_I0+0+0+0], v[vgprValuB_X12_I0+8+2+0], a[32:47]
/* numPrefetchIter=0 */
/* dataAtIterA=13 numReadsIterA=15 skipReadsIterA=1 readsPerIterA=4 */
/* dataAtIterB=2 numReadsIterB=3 skipReadsIterB=0 readsPerIterB=3 */


/* iter 15 */

/*  grEndMfmaIndex:6, lwStartMfmaIndex:37, lwEndMfmaIndex:43  */
/*  numMfmaForLR:2, barrierMfmaIndex:45 */
/*  mfmaIndex:45  */
s_waitcnt lgkmcnt(0)                               // lgkmcnt=0 vmcnt=-13wait for local write
s_waitcnt lgkmcnt(0) & vmcnt(0)                    // force waitcnt0
s_barrier //
s_waitcnt lgkmcnt(0)                               // lgkmcnt=0 vmcnt=-1wait for prior local read local write old=0, new=0 newLW=0 newLR=0
/* pack scheduling: packAIdx:3, packBIdx:0 */
_v_lshl_or_b32 v[vgprValuA_X15_I0+0], v108, 0x8, v[vgprValuA_X15_I0+0] // pack two int8 Vgpr to one half Vgpr
_v_lshl_or_b32 v109, v110, 0x8, v109               // pack two int8 Vgpr to one half Vgpr
v_or_b32 v[vgprValuA_X15_I0+0], v[vgprValuA_X15_I0+0], v109 // pack two half Vgpr to one Vgpr
s_nop  1                                           // VALU packing writes to be consumed by matrix instruction
v_mfma_i32_32x32x8i8 a[0+0:15+0], v[vgprValuA_X15_I0+0+0+0], v[vgprValuB_X12_I0+0+3+0], a[0:15]
/*  mfmaIndex:46  */
_ds_load_u8 v[vgprValuA_X0_I0+0], v[vgprLocalReadAddrA] offset:0 // L -> Reg lro=0 swapByteOffset=0 ti=128 vIdx=0 rIdx=0 oIdx=0 buffer=0 iui=0
_ds_load_u8 v105, v[vgprLocalReadAddrA] offset:128 // L -> Reg lro=0 swapByteOffset=0 ti=128 vIdx=0 rIdx=1 oIdx=0 buffer=0 iui=0
_ds_load_u8_d16_hi v106, v[vgprLocalReadAddrA] offset:256 // L -> Reg lro=0 swapByteOffset=0 ti=128 vIdx=0 rIdx=2 oIdx=0 buffer=0 iui=0
_ds_load_u8_d16_hi v107, v[vgprLocalReadAddrA] offset:384 // L -> Reg lro=0 swapByteOffset=0 ti=128 vIdx=0 rIdx=3 oIdx=0 buffer=0 iui=0
_ds_load_b128 v[vgprValuB_X0_I0+0:vgprValuB_X0_I0+0+3], v[vgprLocalReadAddrB] offset:0 // L -> Reg lro=0 swapByteOffset=0 ti=32 vIdx=0 rIdx=0 oIdx=0 buffer=0 iui=0
v_mfma_i32_32x32x8i8 a[16+0:31+0], v[vgprValuA_X15_I0+0+0+0], v[vgprValuB_X12_I0+4+3+0], a[16:31]
/*  mfmaIndex:47  */
_ds_load_b128 v[vgprValuB_X0_I0+4:vgprValuB_X0_I0+4+3], v[vgprLocalReadAddrB] offset:4608 // L -> Reg lro=0 swapByteOffset=0 ti=32 vIdx=1 rIdx=0 oIdx=0 buffer=0 iui=0
_ds_load_b128 v[vgprValuB_X0_I0+8:vgprValuB_X0_I0+8+3], v[vgprLocalReadAddrB] offset:9216 // L -> Reg lro=0 swapByteOffset=0 ti=32 vIdx=2 rIdx=0 oIdx=0 buffer=0 iui=0
v_mfma_i32_32x32x8i8 a[32+0:47+0], v[vgprValuA_X15_I0+0+0+0], v[vgprValuB_X12_I0+8+3+0], a[32:47]
/* numPrefetchIter=1 */
/* dataAtIterA=14 numReadsIterA=15 skipReadsIterA=1 readsPerIterA=4 */
/* dataAtIterB=2 numReadsIterB=3 skipReadsIterB=1 readsPerIterB=3 */


/******************************************/
/* Unrolled Loop - End 2/2 (final)        */
/******************************************/


/* closeLoop loopL finalLoop=1 tailLoop=0 */
s_sub_u32 s[sgprLoopCounterL], s[sgprLoopCounterL], 1 // dec counterL
s_cmp_eq_i32 s[sgprLoopCounterL], 0x1              // counterL==1
s_cbranch_scc0 LoopBeginL_1                        // restart LoopL
LoopEndL_evenexit_4: // unroll loop eveniter exit
s_branch LoopEndL_2                                // exit unroll loopL (and skip second exit code)
LoopEndL_oddexit_3: // unroll loop odditer exit

/* Select high bank of LDS */
v_xor_b32 v[vgprLocalReadAddrA], 0x8000, v[vgprLocalReadAddrA] // swap Red Blk
v_xor_b32 v[vgprLocalReadAddrB], 0x8000, v[vgprLocalReadAddrB] // swap Red Blk
LoopEndL_2:


/* Before NLL: Check VGPR.checkin for INT8 LW */


/******************************************/
/* Opt. NoLoadLoop Without PAP - Begin                                      */
/******************************************/

s_cmpk_eq_u32 s[sgprBeta], 0x0                     // Beta == 0
s_cbranch_scc0 OptNLL_End_17                       // Branch if Beta is not zero

s_cmp_eq_u32 s[sgprAlpha], 1                       // Alpha == 1.0 ?
s_cbranch_scc0 OptNLL_End_17                       // branch if alpha != 1

s_and_b32 s34, 127, s[sgprSizeI]                   // s34 = s[sgprSizeI] % 128
s_add_u32 s35, -0x1, s[sgprNumWorkGroups0]         // 
s_cmp_ge_u32 s[sgprWorkGroup0], s35                // wg0 >= nwg0-1 ?
s_cselect_b32 s34, s34, 0                          // set rMT0
s_cmpk_gt_u32 s34, 0x0                             // rMT0 > 0
s_cbranch_scc1 OptNLL_End_17                       // jump if edges required
s_mov_b32 s37, 0x0                                 // STATIC_DIV: divisior=96
s_mul_i32 s36, 0x555, s[sgprSizeJ]                 // tmp1 = dividend * magic hi
s_lshl_b64 s[36:37], s[36:37], 0x10                // left shift 16 bits
s_mul_i32 s35, s[sgprSizeJ], 0x5556                // tmp0 = dividend * magic lo
s_add_u32 s36, s35, s36                            // add lo
s_addc_u32 s37, s37, 0x0                           // add hi
s_lshr_b64 s[36:37], s[36:37], 0x21                // tmp1 = (dividend * magic) << shift
s_mov_b32 s35, s36                                 // quotient
s_mul_i32 s36, s35, 0x60                           // quotient*divisor
s_sub_u32 s34, s[sgprSizeJ], s36                   // rReg = dividend - quotient*divisor
s_add_u32 s35, -0x1, s[sgprNumWorkGroups1]         // 
s_cmp_ge_u32 s[sgprWorkGroup1], s35                // wg1 >= nwg1-1
s_cselect_b32 s34, s34, 0                          // set rMT1
s_cmpk_gt_u32 s34, 0x0                             // rMT1 > 0
s_cbranch_scc1 OptNLL_End_17                       // jump if edges required

s_and_b32 s35, 127, s[sgprSizesSum+0]              // s35 = s[sgprSizesSum+0] % 128
s_cmp_eq_u32 s35, 0x0                              // numIterL == 0
s_cbranch_scc0 OptNLL_End_17                       // skip if tail loop required


	;; [unrolled: 1-line block ×3, first 2 shown]
/* iter 0 (last unrolled loop) */

/*  grEndMfmaIndex:0, lwStartMfmaIndex:43, lwEndMfmaIndex:43  */
/*  numMfmaForLR:2, barrierMfmaIndex:45 */
/*  mfmaIndex:0  */
s_waitcnt lgkmcnt(0)                               // lgkmcnt=0 vmcnt=-1wait for prior local read local write old=0, new=0 newLW=0 newLR=0
/* pack scheduling: packAIdx:3, packBIdx:0 */
_v_lshl_or_b32 v[vgprValuA_X0_I0+0], v105, 0x8, v[vgprValuA_X0_I0+0] // pack two int8 Vgpr to one half Vgpr
_v_lshl_or_b32 v106, v107, 0x8, v106               // pack two int8 Vgpr to one half Vgpr
v_or_b32 v[vgprValuA_X0_I0+0], v[vgprValuA_X0_I0+0], v106 // pack two half Vgpr to one Vgpr
s_nop  1                                           // VALU packing writes to be consumed by matrix instruction
v_mfma_i32_32x32x8i8 a[0+0:15+0], v[vgprValuA_X0_I0+0+0+0], v[vgprValuB_X0_I0+0+0+0], a[0:15]
/*  mfmaIndex:1  */
_ds_load_u8 v[vgprValuA_X1_I0+0], v[vgprLocalReadAddrA] offset:512 // L -> Reg lro=512 swapByteOffset=0 ti=128 vIdx=0 rIdx=0 oIdx=0 buffer=1 iui=0
_ds_load_u8 v108, v[vgprLocalReadAddrA] offset:640 // L -> Reg lro=512 swapByteOffset=0 ti=128 vIdx=0 rIdx=1 oIdx=0 buffer=1 iui=0
_ds_load_u8_d16_hi v109, v[vgprLocalReadAddrA] offset:768 // L -> Reg lro=512 swapByteOffset=0 ti=128 vIdx=0 rIdx=2 oIdx=0 buffer=1 iui=0
_ds_load_u8_d16_hi v110, v[vgprLocalReadAddrA] offset:896 // L -> Reg lro=512 swapByteOffset=0 ti=128 vIdx=0 rIdx=3 oIdx=0 buffer=1 iui=0
_ds_load_b128 v[vgprValuB_X4_I0+0:vgprValuB_X4_I0+0+3], v[vgprLocalReadAddrB] offset:32 // L -> Reg lro=32 swapByteOffset=0 ti=32 vIdx=0 rIdx=0 oIdx=0 buffer=4 iui=0
v_mfma_i32_32x32x8i8 a[16+0:31+0], v[vgprValuA_X0_I0+0+0+0], v[vgprValuB_X0_I0+4+0+0], a[16:31]
/*  mfmaIndex:2  */
_ds_load_b128 v[vgprValuB_X4_I0+4:vgprValuB_X4_I0+4+3], v[vgprLocalReadAddrB] offset:4640 // L -> Reg lro=32 swapByteOffset=0 ti=32 vIdx=1 rIdx=0 oIdx=0 buffer=4 iui=0
_ds_load_b128 v[vgprValuB_X4_I0+8:vgprValuB_X4_I0+8+3], v[vgprLocalReadAddrB] offset:9248 // L -> Reg lro=32 swapByteOffset=0 ti=32 vIdx=2 rIdx=0 oIdx=0 buffer=4 iui=0
/* localReadsVacancy: latencyLeft 5 */
_ds_load_u8 v[vgprValuA_X2_I0+0], v[vgprLocalReadAddrA] offset:1024 // L -> Reg lro=1024 swapByteOffset=0 ti=128 vIdx=0 rIdx=0 oIdx=0 buffer=2 iui=0
v_mfma_i32_32x32x8i8 a[32+0:47+0], v[vgprValuA_X0_I0+0+0+0], v[vgprValuB_X0_I0+8+0+0], a[32:47]
/* numPrefetchIter=0 */
/* dataAtIterA=-1 numReadsIterA=1 skipReadsIterA=1 readsPerIterA=4 */
/* dataAtIterB=-1 numReadsIterB=1 skipReadsIterB=1 readsPerIterB=3 */


/* iter 1 (last unrolled loop) */

/*  grEndMfmaIndex:0, lwStartMfmaIndex:43, lwEndMfmaIndex:43  */
/*  numMfmaForLR:2, barrierMfmaIndex:45 */
/*  mfmaIndex:3  */
_ds_load_u8 v105, v[vgprLocalReadAddrA] offset:1152 // L -> Reg lro=1024 swapByteOffset=0 ti=128 vIdx=0 rIdx=1 oIdx=0 buffer=2 iui=0
_ds_load_u8_d16_hi v106, v[vgprLocalReadAddrA] offset:1280 // L -> Reg lro=1024 swapByteOffset=0 ti=128 vIdx=0 rIdx=2 oIdx=0 buffer=2 iui=0
_ds_load_u8_d16_hi v107, v[vgprLocalReadAddrA] offset:1408 // L -> Reg lro=1024 swapByteOffset=0 ti=128 vIdx=0 rIdx=3 oIdx=0 buffer=2 iui=0
_ds_load_b128 v[vgprValuB_X8_I0+0:vgprValuB_X8_I0+0+3], v[vgprLocalReadAddrB] offset:64 // L -> Reg lro=64 swapByteOffset=0 ti=32 vIdx=0 rIdx=0 oIdx=0 buffer=8 iui=0
s_waitcnt lgkmcnt(5)                               // lgkmcnt=0 vmcnt=-1wait for prior local read local write old=1, new=5 newLW=0 newLR=4
/* pack scheduling: packAIdx:3, packBIdx:0 */
_v_lshl_or_b32 v[vgprValuA_X1_I0+0], v108, 0x8, v[vgprValuA_X1_I0+0] // pack two int8 Vgpr to one half Vgpr
_v_lshl_or_b32 v109, v110, 0x8, v109               // pack two int8 Vgpr to one half Vgpr
v_or_b32 v[vgprValuA_X1_I0+0], v[vgprValuA_X1_I0+0], v109 // pack two half Vgpr to one Vgpr
s_nop  1                                           // VALU packing writes to be consumed by matrix instruction
v_mfma_i32_32x32x8i8 a[0+0:15+0], v[vgprValuA_X1_I0+0+0+0], v[vgprValuB_X0_I0+0+1+0], a[0:15]
/*  mfmaIndex:4  */
_ds_load_b128 v[vgprValuB_X8_I0+4:vgprValuB_X8_I0+4+3], v[vgprLocalReadAddrB] offset:4672 // L -> Reg lro=64 swapByteOffset=0 ti=32 vIdx=1 rIdx=0 oIdx=0 buffer=8 iui=0
_ds_load_b128 v[vgprValuB_X8_I0+8:vgprValuB_X8_I0+8+3], v[vgprLocalReadAddrB] offset:9280 // L -> Reg lro=64 swapByteOffset=0 ti=32 vIdx=2 rIdx=0 oIdx=0 buffer=8 iui=0
/* localReadsVacancy: latencyLeft 5 */
_ds_load_u8 v[vgprValuA_X3_I0+0], v[vgprLocalReadAddrA] offset:1536 // L -> Reg lro=1536 swapByteOffset=0 ti=128 vIdx=0 rIdx=0 oIdx=0 buffer=3 iui=0
v_mfma_i32_32x32x8i8 a[16+0:31+0], v[vgprValuA_X1_I0+0+0+0], v[vgprValuB_X0_I0+4+1+0], a[16:31]
/*  mfmaIndex:5  */
/* localReadsVacancy: latencyLeft 13 */
_ds_load_b128 v[vgprValuB_X12_I0+0:vgprValuB_X12_I0+0+3], v[vgprLocalReadAddrB] offset:96 // L -> Reg lro=96 swapByteOffset=0 ti=32 vIdx=0 rIdx=0 oIdx=0 buffer=12 iui=0
_ds_load_b128 v[vgprValuB_X12_I0+4:vgprValuB_X12_I0+4+3], v[vgprLocalReadAddrB] offset:4704 // L -> Reg lro=96 swapByteOffset=0 ti=32 vIdx=1 rIdx=0 oIdx=0 buffer=12 iui=0
	;; [unrolled: 1-line block ×3, first 2 shown]
v_mfma_i32_32x32x8i8 a[32+0:47+0], v[vgprValuA_X1_I0+0+0+0], v[vgprValuB_X0_I0+8+1+0], a[32:47]
/* numPrefetchIter=0 */
/* dataAtIterA=0 numReadsIterA=2 skipReadsIterA=1 readsPerIterA=4 */
/* dataAtIterB=-1 numReadsIterB=2 skipReadsIterB=0 readsPerIterB=3 */


/* iter 2 (last unrolled loop) */

/*  grEndMfmaIndex:0, lwStartMfmaIndex:43, lwEndMfmaIndex:43  */
/*  numMfmaForLR:2, barrierMfmaIndex:45 */
/*  mfmaIndex:6  */
_ds_load_u8 v108, v[vgprLocalReadAddrA] offset:1664 // L -> Reg lro=1536 swapByteOffset=0 ti=128 vIdx=0 rIdx=1 oIdx=0 buffer=3 iui=0
_ds_load_u8_d16_hi v109, v[vgprLocalReadAddrA] offset:1792 // L -> Reg lro=1536 swapByteOffset=0 ti=128 vIdx=0 rIdx=2 oIdx=0 buffer=3 iui=0
_ds_load_u8_d16_hi v110, v[vgprLocalReadAddrA] offset:1920 // L -> Reg lro=1536 swapByteOffset=0 ti=128 vIdx=0 rIdx=3 oIdx=0 buffer=3 iui=0
/* localReadsVacancy: latencyLeft 7 */
_ds_load_u8 v[vgprValuA_X4_I0+0], v[vgprLocalReadAddrA] offset:4096 // L -> Reg lro=4096 swapByteOffset=0 ti=128 vIdx=0 rIdx=0 oIdx=0 buffer=4 iui=0
_ds_load_u8 v[vgprValuA_X5_I0+0], v[vgprLocalReadAddrA] offset:4608 // L -> Reg lro=4608 swapByteOffset=0 ti=128 vIdx=0 rIdx=0 oIdx=0 buffer=5 iui=0
_ds_load_u8 v[vgprValuA_X6_I0+0], v[vgprLocalReadAddrA] offset:5120 // L -> Reg lro=5120 swapByteOffset=0 ti=128 vIdx=0 rIdx=0 oIdx=0 buffer=6 iui=0
s_waitcnt lgkmcnt(10)                              // lgkmcnt=0 vmcnt=-1wait for prior local read local write old=4, new=7 newLW=0 newLR=3
/* pack scheduling: packAIdx:3, packBIdx:0 */
_v_lshl_or_b32 v[vgprValuA_X2_I0+0], v105, 0x8, v[vgprValuA_X2_I0+0] // pack two int8 Vgpr to one half Vgpr
_v_lshl_or_b32 v106, v107, 0x8, v106               // pack two int8 Vgpr to one half Vgpr
v_or_b32 v[vgprValuA_X2_I0+0], v[vgprValuA_X2_I0+0], v106 // pack two half Vgpr to one Vgpr
s_nop  1                                           // VALU packing writes to be consumed by matrix instruction
v_mfma_i32_32x32x8i8 a[0+0:15+0], v[vgprValuA_X2_I0+0+0+0], v[vgprValuB_X0_I0+0+2+0], a[0:15]
/*  mfmaIndex:7  */
/* localReadsVacancy: latencyLeft 13 */
_ds_load_u8 v[vgprValuA_X7_I0+0], v[vgprLocalReadAddrA] offset:5632 // L -> Reg lro=5632 swapByteOffset=0 ti=128 vIdx=0 rIdx=0 oIdx=0 buffer=7 iui=0
_ds_load_u8 v[vgprValuA_X8_I0+0], v[vgprLocalReadAddrA] offset:8192 // L -> Reg lro=8192 swapByteOffset=0 ti=128 vIdx=0 rIdx=0 oIdx=0 buffer=8 iui=0
_ds_load_u8 v[vgprValuA_X9_I0+0], v[vgprLocalReadAddrA] offset:8704 // L -> Reg lro=8704 swapByteOffset=0 ti=128 vIdx=0 rIdx=0 oIdx=0 buffer=9 iui=0
_ds_load_u8 v[vgprValuA_X10_I0+0], v[vgprLocalReadAddrA] offset:9216 // L -> Reg lro=9216 swapByteOffset=0 ti=128 vIdx=0 rIdx=0 oIdx=0 buffer=10 iui=0
_ds_load_u8 v[vgprValuA_X11_I0+0], v[vgprLocalReadAddrA] offset:9728 // L -> Reg lro=9728 swapByteOffset=0 ti=128 vIdx=0 rIdx=0 oIdx=0 buffer=11 iui=0
_ds_load_u8 v[vgprValuA_X12_I0+0], v[vgprLocalReadAddrA] offset:12288 // L -> Reg lro=12288 swapByteOffset=0 ti=128 vIdx=0 rIdx=0 oIdx=0 buffer=12 iui=0
v_mfma_i32_32x32x8i8 a[16+0:31+0], v[vgprValuA_X2_I0+0+0+0], v[vgprValuB_X0_I0+4+2+0], a[16:31]
/*  mfmaIndex:8  */
/* localReadsVacancy: latencyLeft 13 */
_ds_load_u8 v[vgprValuA_X13_I0+0], v[vgprLocalReadAddrA] offset:12800 // L -> Reg lro=12800 swapByteOffset=0 ti=128 vIdx=0 rIdx=0 oIdx=0 buffer=13 iui=0
_ds_load_u8 v[vgprValuA_X14_I0+0], v[vgprLocalReadAddrA] offset:13312 // L -> Reg lro=13312 swapByteOffset=0 ti=128 vIdx=0 rIdx=0 oIdx=0 buffer=14 iui=0
_ds_load_u8 v[vgprValuA_X15_I0+0], v[vgprLocalReadAddrA] offset:13824 // L -> Reg lro=13824 swapByteOffset=0 ti=128 vIdx=0 rIdx=0 oIdx=0 buffer=15 iui=0
v_mfma_i32_32x32x8i8 a[32+0:47+0], v[vgprValuA_X2_I0+0+0+0], v[vgprValuB_X0_I0+8+2+0], a[32:47]
/* numPrefetchIter=0 */
/* dataAtIterA=1 numReadsIterA=3 skipReadsIterA=1 readsPerIterA=4 */
/* dataAtIterB=-1 numReadsIterB=3 skipReadsIterB=0 readsPerIterB=3 */


/* iter 3 (last unrolled loop) */

/*  grEndMfmaIndex:0, lwStartMfmaIndex:43, lwEndMfmaIndex:43  */
/*  numMfmaForLR:2, barrierMfmaIndex:45 */
/*  mfmaIndex:9  */
_ds_load_u8 v105, v[vgprLocalReadAddrA] offset:4224 // L -> Reg lro=4096 swapByteOffset=0 ti=128 vIdx=0 rIdx=1 oIdx=0 buffer=4 iui=0
_ds_load_u8_d16_hi v106, v[vgprLocalReadAddrA] offset:4352 // L -> Reg lro=4096 swapByteOffset=0 ti=128 vIdx=0 rIdx=2 oIdx=0 buffer=4 iui=0
_ds_load_u8_d16_hi v107, v[vgprLocalReadAddrA] offset:4480 // L -> Reg lro=4096 swapByteOffset=0 ti=128 vIdx=0 rIdx=3 oIdx=0 buffer=4 iui=0
/* localReadsVacancy: latencyLeft 7 */
s_waitcnt lgkmcnt(15)                              // lgkmcnt=0 vmcnt=-1wait for prior local read local write old=1, new=4 newLW=0 newLR=3
/* pack scheduling: packAIdx:3, packBIdx:0 */
_v_lshl_or_b32 v[vgprValuA_X3_I0+0], v108, 0x8, v[vgprValuA_X3_I0+0] // pack two int8 Vgpr to one half Vgpr
_v_lshl_or_b32 v109, v110, 0x8, v109               // pack two int8 Vgpr to one half Vgpr
v_or_b32 v[vgprValuA_X3_I0+0], v[vgprValuA_X3_I0+0], v109 // pack two half Vgpr to one Vgpr
s_nop  1                                           // VALU packing writes to be consumed by matrix instruction
v_mfma_i32_32x32x8i8 a[0+0:15+0], v[vgprValuA_X3_I0+0+0+0], v[vgprValuB_X0_I0+0+3+0], a[0:15]
/*  mfmaIndex:10  */
/* localReadsVacancy: latencyLeft 13 */
v_mfma_i32_32x32x8i8 a[16+0:31+0], v[vgprValuA_X3_I0+0+0+0], v[vgprValuB_X0_I0+4+3+0], a[16:31]
/*  mfmaIndex:11  */
/* localReadsVacancy: latencyLeft 13 */
v_mfma_i32_32x32x8i8 a[32+0:47+0], v[vgprValuA_X3_I0+0+0+0], v[vgprValuB_X0_I0+8+3+0], a[32:47]
/* numPrefetchIter=0 */
/* dataAtIterA=2 numReadsIterA=4 skipReadsIterA=1 readsPerIterA=4 */
/* dataAtIterB=-1 numReadsIterB=3 skipReadsIterB=0 readsPerIterB=3 */


/* iter 4 (last unrolled loop) */

/*  grEndMfmaIndex:0, lwStartMfmaIndex:43, lwEndMfmaIndex:43  */
/*  numMfmaForLR:2, barrierMfmaIndex:45 */
/*  mfmaIndex:12  */
_ds_load_u8 v108, v[vgprLocalReadAddrA] offset:4736 // L -> Reg lro=4608 swapByteOffset=0 ti=128 vIdx=0 rIdx=1 oIdx=0 buffer=5 iui=0
_ds_load_u8_d16_hi v109, v[vgprLocalReadAddrA] offset:4864 // L -> Reg lro=4608 swapByteOffset=0 ti=128 vIdx=0 rIdx=2 oIdx=0 buffer=5 iui=0
_ds_load_u8_d16_hi v110, v[vgprLocalReadAddrA] offset:4992 // L -> Reg lro=4608 swapByteOffset=0 ti=128 vIdx=0 rIdx=3 oIdx=0 buffer=5 iui=0
/* localReadsVacancy: latencyLeft 7 */
s_waitcnt lgkmcnt(3)                               // lgkmcnt=0 vmcnt=-1wait for prior local read local write old=0, new=3 newLW=0 newLR=3
/* pack scheduling: packAIdx:3, packBIdx:0 */
_v_lshl_or_b32 v[vgprValuA_X4_I0+0], v105, 0x8, v[vgprValuA_X4_I0+0] // pack two int8 Vgpr to one half Vgpr
_v_lshl_or_b32 v106, v107, 0x8, v106               // pack two int8 Vgpr to one half Vgpr
v_or_b32 v[vgprValuA_X4_I0+0], v[vgprValuA_X4_I0+0], v106 // pack two half Vgpr to one Vgpr
s_nop  1                                           // VALU packing writes to be consumed by matrix instruction
v_mfma_i32_32x32x8i8 a[0+0:15+0], v[vgprValuA_X4_I0+0+0+0], v[vgprValuB_X4_I0+0+0+0], a[0:15]
/*  mfmaIndex:13  */
/* localReadsVacancy: latencyLeft 13 */
v_mfma_i32_32x32x8i8 a[16+0:31+0], v[vgprValuA_X4_I0+0+0+0], v[vgprValuB_X4_I0+4+0+0], a[16:31]
/*  mfmaIndex:14  */
/* localReadsVacancy: latencyLeft 13 */
v_mfma_i32_32x32x8i8 a[32+0:47+0], v[vgprValuA_X4_I0+0+0+0], v[vgprValuB_X4_I0+8+0+0], a[32:47]
/* numPrefetchIter=0 */
/* dataAtIterA=3 numReadsIterA=5 skipReadsIterA=1 readsPerIterA=4 */
/* dataAtIterB=0 numReadsIterB=3 skipReadsIterB=0 readsPerIterB=3 */


/* iter 5 (last unrolled loop) */

/*  grEndMfmaIndex:0, lwStartMfmaIndex:43, lwEndMfmaIndex:43  */
/*  numMfmaForLR:2, barrierMfmaIndex:45 */
/*  mfmaIndex:15  */
_ds_load_u8 v105, v[vgprLocalReadAddrA] offset:5248 // L -> Reg lro=5120 swapByteOffset=0 ti=128 vIdx=0 rIdx=1 oIdx=0 buffer=6 iui=0
_ds_load_u8_d16_hi v106, v[vgprLocalReadAddrA] offset:5376 // L -> Reg lro=5120 swapByteOffset=0 ti=128 vIdx=0 rIdx=2 oIdx=0 buffer=6 iui=0
_ds_load_u8_d16_hi v107, v[vgprLocalReadAddrA] offset:5504 // L -> Reg lro=5120 swapByteOffset=0 ti=128 vIdx=0 rIdx=3 oIdx=0 buffer=6 iui=0
/* localReadsVacancy: latencyLeft 7 */
s_waitcnt lgkmcnt(3)                               // lgkmcnt=0 vmcnt=-1wait for prior local read local write old=0, new=3 newLW=0 newLR=3
/* pack scheduling: packAIdx:3, packBIdx:0 */
_v_lshl_or_b32 v[vgprValuA_X5_I0+0], v108, 0x8, v[vgprValuA_X5_I0+0] // pack two int8 Vgpr to one half Vgpr
_v_lshl_or_b32 v109, v110, 0x8, v109               // pack two int8 Vgpr to one half Vgpr
v_or_b32 v[vgprValuA_X5_I0+0], v[vgprValuA_X5_I0+0], v109 // pack two half Vgpr to one Vgpr
s_nop  1                                           // VALU packing writes to be consumed by matrix instruction
v_mfma_i32_32x32x8i8 a[0+0:15+0], v[vgprValuA_X5_I0+0+0+0], v[vgprValuB_X4_I0+0+1+0], a[0:15]
/*  mfmaIndex:16  */
/* localReadsVacancy: latencyLeft 13 */
v_mfma_i32_32x32x8i8 a[16+0:31+0], v[vgprValuA_X5_I0+0+0+0], v[vgprValuB_X4_I0+4+1+0], a[16:31]
/*  mfmaIndex:17  */
/* localReadsVacancy: latencyLeft 13 */
v_mfma_i32_32x32x8i8 a[32+0:47+0], v[vgprValuA_X5_I0+0+0+0], v[vgprValuB_X4_I0+8+1+0], a[32:47]
/* numPrefetchIter=0 */
/* dataAtIterA=4 numReadsIterA=6 skipReadsIterA=1 readsPerIterA=4 */
/* dataAtIterB=0 numReadsIterB=3 skipReadsIterB=0 readsPerIterB=3 */


/* iter 6 (last unrolled loop) */

/*  grEndMfmaIndex:0, lwStartMfmaIndex:43, lwEndMfmaIndex:43  */
/*  numMfmaForLR:2, barrierMfmaIndex:45 */
/*  mfmaIndex:18  */
_ds_load_u8 v108, v[vgprLocalReadAddrA] offset:5760 // L -> Reg lro=5632 swapByteOffset=0 ti=128 vIdx=0 rIdx=1 oIdx=0 buffer=7 iui=0
_ds_load_u8_d16_hi v109, v[vgprLocalReadAddrA] offset:5888 // L -> Reg lro=5632 swapByteOffset=0 ti=128 vIdx=0 rIdx=2 oIdx=0 buffer=7 iui=0
_ds_load_u8_d16_hi v110, v[vgprLocalReadAddrA] offset:6016 // L -> Reg lro=5632 swapByteOffset=0 ti=128 vIdx=0 rIdx=3 oIdx=0 buffer=7 iui=0
/* localReadsVacancy: latencyLeft 7 */
s_waitcnt lgkmcnt(3)                               // lgkmcnt=0 vmcnt=-1wait for prior local read local write old=0, new=3 newLW=0 newLR=3
/* pack scheduling: packAIdx:3, packBIdx:0 */
_v_lshl_or_b32 v[vgprValuA_X6_I0+0], v105, 0x8, v[vgprValuA_X6_I0+0] // pack two int8 Vgpr to one half Vgpr
_v_lshl_or_b32 v106, v107, 0x8, v106               // pack two int8 Vgpr to one half Vgpr
v_or_b32 v[vgprValuA_X6_I0+0], v[vgprValuA_X6_I0+0], v106 // pack two half Vgpr to one Vgpr
s_nop  1                                           // VALU packing writes to be consumed by matrix instruction
v_mfma_i32_32x32x8i8 a[0+0:15+0], v[vgprValuA_X6_I0+0+0+0], v[vgprValuB_X4_I0+0+2+0], a[0:15]
/*  mfmaIndex:19  */
/* localReadsVacancy: latencyLeft 13 */
v_mfma_i32_32x32x8i8 a[16+0:31+0], v[vgprValuA_X6_I0+0+0+0], v[vgprValuB_X4_I0+4+2+0], a[16:31]
/*  mfmaIndex:20  */
/* localReadsVacancy: latencyLeft 13 */
v_mfma_i32_32x32x8i8 a[32+0:47+0], v[vgprValuA_X6_I0+0+0+0], v[vgprValuB_X4_I0+8+2+0], a[32:47]
/* numPrefetchIter=0 */
/* dataAtIterA=5 numReadsIterA=7 skipReadsIterA=1 readsPerIterA=4 */
/* dataAtIterB=0 numReadsIterB=3 skipReadsIterB=0 readsPerIterB=3 */


/* iter 7 (last unrolled loop) */

/*  grEndMfmaIndex:0, lwStartMfmaIndex:43, lwEndMfmaIndex:43  */
/*  numMfmaForLR:2, barrierMfmaIndex:45 */
/*  mfmaIndex:21  */
_ds_load_u8 v105, v[vgprLocalReadAddrA] offset:8320 // L -> Reg lro=8192 swapByteOffset=0 ti=128 vIdx=0 rIdx=1 oIdx=0 buffer=8 iui=0
_ds_load_u8_d16_hi v106, v[vgprLocalReadAddrA] offset:8448 // L -> Reg lro=8192 swapByteOffset=0 ti=128 vIdx=0 rIdx=2 oIdx=0 buffer=8 iui=0
_ds_load_u8_d16_hi v107, v[vgprLocalReadAddrA] offset:8576 // L -> Reg lro=8192 swapByteOffset=0 ti=128 vIdx=0 rIdx=3 oIdx=0 buffer=8 iui=0
/* localReadsVacancy: latencyLeft 7 */
s_waitcnt lgkmcnt(3)                               // lgkmcnt=0 vmcnt=-1wait for prior local read local write old=0, new=3 newLW=0 newLR=3
/* pack scheduling: packAIdx:3, packBIdx:0 */
_v_lshl_or_b32 v[vgprValuA_X7_I0+0], v108, 0x8, v[vgprValuA_X7_I0+0] // pack two int8 Vgpr to one half Vgpr
_v_lshl_or_b32 v109, v110, 0x8, v109               // pack two int8 Vgpr to one half Vgpr
v_or_b32 v[vgprValuA_X7_I0+0], v[vgprValuA_X7_I0+0], v109 // pack two half Vgpr to one Vgpr
s_nop  1                                           // VALU packing writes to be consumed by matrix instruction
v_mfma_i32_32x32x8i8 a[0+0:15+0], v[vgprValuA_X7_I0+0+0+0], v[vgprValuB_X4_I0+0+3+0], a[0:15]
/*  mfmaIndex:22  */
/* localReadsVacancy: latencyLeft 13 */
v_mfma_i32_32x32x8i8 a[16+0:31+0], v[vgprValuA_X7_I0+0+0+0], v[vgprValuB_X4_I0+4+3+0], a[16:31]
/*  mfmaIndex:23  */
/* localReadsVacancy: latencyLeft 13 */
v_mfma_i32_32x32x8i8 a[32+0:47+0], v[vgprValuA_X7_I0+0+0+0], v[vgprValuB_X4_I0+8+3+0], a[32:47]
/* numPrefetchIter=0 */
/* dataAtIterA=6 numReadsIterA=8 skipReadsIterA=1 readsPerIterA=4 */
/* dataAtIterB=0 numReadsIterB=3 skipReadsIterB=0 readsPerIterB=3 */


/* iter 8 (last unrolled loop) */

/*  grEndMfmaIndex:0, lwStartMfmaIndex:43, lwEndMfmaIndex:43  */
/*  numMfmaForLR:2, barrierMfmaIndex:45 */
/*  mfmaIndex:24  */
_ds_load_u8 v108, v[vgprLocalReadAddrA] offset:8832 // L -> Reg lro=8704 swapByteOffset=0 ti=128 vIdx=0 rIdx=1 oIdx=0 buffer=9 iui=0
_ds_load_u8_d16_hi v109, v[vgprLocalReadAddrA] offset:8960 // L -> Reg lro=8704 swapByteOffset=0 ti=128 vIdx=0 rIdx=2 oIdx=0 buffer=9 iui=0
_ds_load_u8_d16_hi v110, v[vgprLocalReadAddrA] offset:9088 // L -> Reg lro=8704 swapByteOffset=0 ti=128 vIdx=0 rIdx=3 oIdx=0 buffer=9 iui=0
/* localReadsVacancy: latencyLeft 7 */
s_waitcnt lgkmcnt(3)                               // lgkmcnt=0 vmcnt=-1wait for prior local read local write old=0, new=3 newLW=0 newLR=3
/* pack scheduling: packAIdx:3, packBIdx:0 */
_v_lshl_or_b32 v[vgprValuA_X8_I0+0], v105, 0x8, v[vgprValuA_X8_I0+0] // pack two int8 Vgpr to one half Vgpr
_v_lshl_or_b32 v106, v107, 0x8, v106               // pack two int8 Vgpr to one half Vgpr
v_or_b32 v[vgprValuA_X8_I0+0], v[vgprValuA_X8_I0+0], v106 // pack two half Vgpr to one Vgpr
s_nop  1                                           // VALU packing writes to be consumed by matrix instruction
v_mfma_i32_32x32x8i8 a[0+0:15+0], v[vgprValuA_X8_I0+0+0+0], v[vgprValuB_X8_I0+0+0+0], a[0:15]
/*  mfmaIndex:25  */
/* localReadsVacancy: latencyLeft 13 */
v_mfma_i32_32x32x8i8 a[16+0:31+0], v[vgprValuA_X8_I0+0+0+0], v[vgprValuB_X8_I0+4+0+0], a[16:31]
/*  mfmaIndex:26  */
/* localReadsVacancy: latencyLeft 13 */
v_mfma_i32_32x32x8i8 a[32+0:47+0], v[vgprValuA_X8_I0+0+0+0], v[vgprValuB_X8_I0+8+0+0], a[32:47]
/* numPrefetchIter=0 */
/* dataAtIterA=7 numReadsIterA=9 skipReadsIterA=1 readsPerIterA=4 */
/* dataAtIterB=1 numReadsIterB=3 skipReadsIterB=0 readsPerIterB=3 */


/* iter 9 (last unrolled loop) */

/*  grEndMfmaIndex:0, lwStartMfmaIndex:43, lwEndMfmaIndex:43  */
/*  numMfmaForLR:2, barrierMfmaIndex:45 */
/*  mfmaIndex:27  */
_ds_load_u8 v105, v[vgprLocalReadAddrA] offset:9344 // L -> Reg lro=9216 swapByteOffset=0 ti=128 vIdx=0 rIdx=1 oIdx=0 buffer=10 iui=0
_ds_load_u8_d16_hi v106, v[vgprLocalReadAddrA] offset:9472 // L -> Reg lro=9216 swapByteOffset=0 ti=128 vIdx=0 rIdx=2 oIdx=0 buffer=10 iui=0
_ds_load_u8_d16_hi v107, v[vgprLocalReadAddrA] offset:9600 // L -> Reg lro=9216 swapByteOffset=0 ti=128 vIdx=0 rIdx=3 oIdx=0 buffer=10 iui=0
/* localReadsVacancy: latencyLeft 7 */
s_waitcnt lgkmcnt(3)                               // lgkmcnt=0 vmcnt=-1wait for prior local read local write old=0, new=3 newLW=0 newLR=3
/* pack scheduling: packAIdx:3, packBIdx:0 */
_v_lshl_or_b32 v[vgprValuA_X9_I0+0], v108, 0x8, v[vgprValuA_X9_I0+0] // pack two int8 Vgpr to one half Vgpr
_v_lshl_or_b32 v109, v110, 0x8, v109               // pack two int8 Vgpr to one half Vgpr
v_or_b32 v[vgprValuA_X9_I0+0], v[vgprValuA_X9_I0+0], v109 // pack two half Vgpr to one Vgpr
s_nop  1                                           // VALU packing writes to be consumed by matrix instruction
v_mfma_i32_32x32x8i8 a[0+0:15+0], v[vgprValuA_X9_I0+0+0+0], v[vgprValuB_X8_I0+0+1+0], a[0:15]
/*  mfmaIndex:28  */
/* localReadsVacancy: latencyLeft 13 */
v_mfma_i32_32x32x8i8 a[16+0:31+0], v[vgprValuA_X9_I0+0+0+0], v[vgprValuB_X8_I0+4+1+0], a[16:31]
/*  mfmaIndex:29  */
/* localReadsVacancy: latencyLeft 13 */
v_mfma_i32_32x32x8i8 a[32+0:47+0], v[vgprValuA_X9_I0+0+0+0], v[vgprValuB_X8_I0+8+1+0], a[32:47]
/* numPrefetchIter=0 */
/* dataAtIterA=8 numReadsIterA=10 skipReadsIterA=1 readsPerIterA=4 */
/* dataAtIterB=1 numReadsIterB=3 skipReadsIterB=0 readsPerIterB=3 */


/* iter 10 (last unrolled loop) */

/*  grEndMfmaIndex:0, lwStartMfmaIndex:43, lwEndMfmaIndex:43  */
/*  numMfmaForLR:2, barrierMfmaIndex:45 */
/*  mfmaIndex:30  */
_ds_load_u8 v108, v[vgprLocalReadAddrA] offset:9856 // L -> Reg lro=9728 swapByteOffset=0 ti=128 vIdx=0 rIdx=1 oIdx=0 buffer=11 iui=0
_ds_load_u8_d16_hi v109, v[vgprLocalReadAddrA] offset:9984 // L -> Reg lro=9728 swapByteOffset=0 ti=128 vIdx=0 rIdx=2 oIdx=0 buffer=11 iui=0
_ds_load_u8_d16_hi v110, v[vgprLocalReadAddrA] offset:10112 // L -> Reg lro=9728 swapByteOffset=0 ti=128 vIdx=0 rIdx=3 oIdx=0 buffer=11 iui=0
/* localReadsVacancy: latencyLeft 7 */
s_waitcnt lgkmcnt(3)                               // lgkmcnt=0 vmcnt=-1wait for prior local read local write old=0, new=3 newLW=0 newLR=3
/* pack scheduling: packAIdx:3, packBIdx:0 */
_v_lshl_or_b32 v[vgprValuA_X10_I0+0], v105, 0x8, v[vgprValuA_X10_I0+0] // pack two int8 Vgpr to one half Vgpr
_v_lshl_or_b32 v106, v107, 0x8, v106               // pack two int8 Vgpr to one half Vgpr
v_or_b32 v[vgprValuA_X10_I0+0], v[vgprValuA_X10_I0+0], v106 // pack two half Vgpr to one Vgpr
s_nop  1                                           // VALU packing writes to be consumed by matrix instruction
v_mfma_i32_32x32x8i8 a[0+0:15+0], v[vgprValuA_X10_I0+0+0+0], v[vgprValuB_X8_I0+0+2+0], a[0:15]
/*  mfmaIndex:31  */
/* localReadsVacancy: latencyLeft 13 */
v_mfma_i32_32x32x8i8 a[16+0:31+0], v[vgprValuA_X10_I0+0+0+0], v[vgprValuB_X8_I0+4+2+0], a[16:31]
/*  mfmaIndex:32  */
/* localReadsVacancy: latencyLeft 13 */
v_mfma_i32_32x32x8i8 a[32+0:47+0], v[vgprValuA_X10_I0+0+0+0], v[vgprValuB_X8_I0+8+2+0], a[32:47]
/* numPrefetchIter=0 */
/* dataAtIterA=9 numReadsIterA=11 skipReadsIterA=1 readsPerIterA=4 */
/* dataAtIterB=1 numReadsIterB=3 skipReadsIterB=0 readsPerIterB=3 */


/* iter 11 (last unrolled loop) */

/*  grEndMfmaIndex:0, lwStartMfmaIndex:43, lwEndMfmaIndex:43  */
/*  numMfmaForLR:2, barrierMfmaIndex:45 */
/*  mfmaIndex:33  */
_ds_load_u8 v105, v[vgprLocalReadAddrA] offset:12416 // L -> Reg lro=12288 swapByteOffset=0 ti=128 vIdx=0 rIdx=1 oIdx=0 buffer=12 iui=0
_ds_load_u8_d16_hi v106, v[vgprLocalReadAddrA] offset:12544 // L -> Reg lro=12288 swapByteOffset=0 ti=128 vIdx=0 rIdx=2 oIdx=0 buffer=12 iui=0
_ds_load_u8_d16_hi v107, v[vgprLocalReadAddrA] offset:12672 // L -> Reg lro=12288 swapByteOffset=0 ti=128 vIdx=0 rIdx=3 oIdx=0 buffer=12 iui=0
/* localReadsVacancy: latencyLeft 7 */
s_waitcnt lgkmcnt(3)                               // lgkmcnt=0 vmcnt=-1wait for prior local read local write old=0, new=3 newLW=0 newLR=3
/* pack scheduling: packAIdx:3, packBIdx:0 */
_v_lshl_or_b32 v[vgprValuA_X11_I0+0], v108, 0x8, v[vgprValuA_X11_I0+0] // pack two int8 Vgpr to one half Vgpr
_v_lshl_or_b32 v109, v110, 0x8, v109               // pack two int8 Vgpr to one half Vgpr
v_or_b32 v[vgprValuA_X11_I0+0], v[vgprValuA_X11_I0+0], v109 // pack two half Vgpr to one Vgpr
s_nop  1                                           // VALU packing writes to be consumed by matrix instruction
v_mfma_i32_32x32x8i8 a[0+0:15+0], v[vgprValuA_X11_I0+0+0+0], v[vgprValuB_X8_I0+0+3+0], a[0:15]
/*  mfmaIndex:34  */
/* localReadsVacancy: latencyLeft 13 */
v_mfma_i32_32x32x8i8 a[16+0:31+0], v[vgprValuA_X11_I0+0+0+0], v[vgprValuB_X8_I0+4+3+0], a[16:31]
/*  mfmaIndex:35  */
/* localReadsVacancy: latencyLeft 13 */
v_mfma_i32_32x32x8i8 a[32+0:47+0], v[vgprValuA_X11_I0+0+0+0], v[vgprValuB_X8_I0+8+3+0], a[32:47]
/* numPrefetchIter=0 */
/* dataAtIterA=10 numReadsIterA=12 skipReadsIterA=1 readsPerIterA=4 */
/* dataAtIterB=1 numReadsIterB=3 skipReadsIterB=0 readsPerIterB=3 */


/* iter 12 (last unrolled loop) */

/*  grEndMfmaIndex:0, lwStartMfmaIndex:43, lwEndMfmaIndex:43  */
/*  numMfmaForLR:2, barrierMfmaIndex:45 */
/*  mfmaIndex:36  */
_ds_load_u8 v108, v[vgprLocalReadAddrA] offset:12928 // L -> Reg lro=12800 swapByteOffset=0 ti=128 vIdx=0 rIdx=1 oIdx=0 buffer=13 iui=0
_ds_load_u8_d16_hi v109, v[vgprLocalReadAddrA] offset:13056 // L -> Reg lro=12800 swapByteOffset=0 ti=128 vIdx=0 rIdx=2 oIdx=0 buffer=13 iui=0
_ds_load_u8_d16_hi v110, v[vgprLocalReadAddrA] offset:13184 // L -> Reg lro=12800 swapByteOffset=0 ti=128 vIdx=0 rIdx=3 oIdx=0 buffer=13 iui=0
/* localReadsVacancy: latencyLeft 7 */
s_waitcnt lgkmcnt(3)                               // lgkmcnt=0 vmcnt=-1wait for prior local read local write old=0, new=3 newLW=0 newLR=3
/* pack scheduling: packAIdx:3, packBIdx:0 */
_v_lshl_or_b32 v[vgprValuA_X12_I0+0], v105, 0x8, v[vgprValuA_X12_I0+0] // pack two int8 Vgpr to one half Vgpr
_v_lshl_or_b32 v106, v107, 0x8, v106               // pack two int8 Vgpr to one half Vgpr
v_or_b32 v[vgprValuA_X12_I0+0], v[vgprValuA_X12_I0+0], v106 // pack two half Vgpr to one Vgpr
s_nop  1                                           // VALU packing writes to be consumed by matrix instruction
v_mfma_i32_32x32x8i8 a[0+0:15+0], v[vgprValuA_X12_I0+0+0+0], v[vgprValuB_X12_I0+0+0+0], a[0:15]
/*  mfmaIndex:37  */
/* localReadsVacancy: latencyLeft 13 */
v_mfma_i32_32x32x8i8 a[16+0:31+0], v[vgprValuA_X12_I0+0+0+0], v[vgprValuB_X12_I0+4+0+0], a[16:31]
/*  mfmaIndex:38  */
/* localReadsVacancy: latencyLeft 13 */
v_mfma_i32_32x32x8i8 a[32+0:47+0], v[vgprValuA_X12_I0+0+0+0], v[vgprValuB_X12_I0+8+0+0], a[32:47]
/* numPrefetchIter=0 */
/* dataAtIterA=11 numReadsIterA=13 skipReadsIterA=1 readsPerIterA=4 */
/* dataAtIterB=2 numReadsIterB=3 skipReadsIterB=0 readsPerIterB=3 */


/* iter 13 (last unrolled loop) */

/*  grEndMfmaIndex:0, lwStartMfmaIndex:43, lwEndMfmaIndex:43  */
/*  numMfmaForLR:2, barrierMfmaIndex:45 */
/*  mfmaIndex:39  */
_ds_load_u8 v105, v[vgprLocalReadAddrA] offset:13440 // L -> Reg lro=13312 swapByteOffset=0 ti=128 vIdx=0 rIdx=1 oIdx=0 buffer=14 iui=0
_ds_load_u8_d16_hi v106, v[vgprLocalReadAddrA] offset:13568 // L -> Reg lro=13312 swapByteOffset=0 ti=128 vIdx=0 rIdx=2 oIdx=0 buffer=14 iui=0
_ds_load_u8_d16_hi v107, v[vgprLocalReadAddrA] offset:13696 // L -> Reg lro=13312 swapByteOffset=0 ti=128 vIdx=0 rIdx=3 oIdx=0 buffer=14 iui=0
/* localReadsVacancy: latencyLeft 7 */
s_waitcnt lgkmcnt(3)                               // lgkmcnt=0 vmcnt=-1wait for prior local read local write old=0, new=3 newLW=0 newLR=3
/* pack scheduling: packAIdx:3, packBIdx:0 */
_v_lshl_or_b32 v[vgprValuA_X13_I0+0], v108, 0x8, v[vgprValuA_X13_I0+0] // pack two int8 Vgpr to one half Vgpr
_v_lshl_or_b32 v109, v110, 0x8, v109               // pack two int8 Vgpr to one half Vgpr
v_or_b32 v[vgprValuA_X13_I0+0], v[vgprValuA_X13_I0+0], v109 // pack two half Vgpr to one Vgpr
s_nop  1                                           // VALU packing writes to be consumed by matrix instruction
v_mfma_i32_32x32x8i8 a[0+0:15+0], v[vgprValuA_X13_I0+0+0+0], v[vgprValuB_X12_I0+0+1+0], a[0:15]
/*  mfmaIndex:40  */
/* localReadsVacancy: latencyLeft 13 */
v_mfma_i32_32x32x8i8 a[16+0:31+0], v[vgprValuA_X13_I0+0+0+0], v[vgprValuB_X12_I0+4+1+0], a[16:31]
/*  mfmaIndex:41  */
/* localReadsVacancy: latencyLeft 13 */
v_mfma_i32_32x32x8i8 a[32+0:47+0], v[vgprValuA_X13_I0+0+0+0], v[vgprValuB_X12_I0+8+1+0], a[32:47]
/* numPrefetchIter=0 */
/* dataAtIterA=12 numReadsIterA=14 skipReadsIterA=1 readsPerIterA=4 */
/* dataAtIterB=2 numReadsIterB=3 skipReadsIterB=0 readsPerIterB=3 */


/* iter 14 (last unrolled loop) */

/*  grEndMfmaIndex:0, lwStartMfmaIndex:43, lwEndMfmaIndex:43  */
/*  numMfmaForLR:2, barrierMfmaIndex:45 */
/*  mfmaIndex:42  */
_ds_load_u8 v108, v[vgprLocalReadAddrA] offset:13952 // L -> Reg lro=13824 swapByteOffset=0 ti=128 vIdx=0 rIdx=1 oIdx=0 buffer=15 iui=0
_ds_load_u8_d16_hi v109, v[vgprLocalReadAddrA] offset:14080 // L -> Reg lro=13824 swapByteOffset=0 ti=128 vIdx=0 rIdx=2 oIdx=0 buffer=15 iui=0
_ds_load_u8_d16_hi v110, v[vgprLocalReadAddrA] offset:14208 // L -> Reg lro=13824 swapByteOffset=0 ti=128 vIdx=0 rIdx=3 oIdx=0 buffer=15 iui=0
/* localReadsVacancy: latencyLeft 7 */
s_waitcnt lgkmcnt(3)                               // lgkmcnt=0 vmcnt=-1wait for prior local read local write old=0, new=3 newLW=0 newLR=3
/* pack scheduling: packAIdx:3, packBIdx:0 */
_v_lshl_or_b32 v[vgprValuA_X14_I0+0], v105, 0x8, v[vgprValuA_X14_I0+0] // pack two int8 Vgpr to one half Vgpr
_v_lshl_or_b32 v106, v107, 0x8, v106               // pack two int8 Vgpr to one half Vgpr
v_or_b32 v[vgprValuA_X14_I0+0], v[vgprValuA_X14_I0+0], v106 // pack two half Vgpr to one Vgpr
s_nop  1                                           // VALU packing writes to be consumed by matrix instruction
v_mfma_i32_32x32x8i8 a[0+0:15+0], v[vgprValuA_X14_I0+0+0+0], v[vgprValuB_X12_I0+0+2+0], a[0:15]
/*  mfmaIndex:43  */
/* localReadsVacancy: latencyLeft 13 */
v_mfma_i32_32x32x8i8 a[16+0:31+0], v[vgprValuA_X14_I0+0+0+0], v[vgprValuB_X12_I0+4+2+0], a[16:31]
/*  mfmaIndex:44  */
/* localReadsVacancy: latencyLeft 13 */
v_mfma_i32_32x32x8i8 a[32+0:47+0], v[vgprValuA_X14_I0+0+0+0], v[vgprValuB_X12_I0+8+2+0], a[32:47]
/* numPrefetchIter=0 */
/* dataAtIterA=13 numReadsIterA=15 skipReadsIterA=1 readsPerIterA=4 */
/* dataAtIterB=2 numReadsIterB=3 skipReadsIterB=0 readsPerIterB=3 */


/* iter 15 (last unrolled loop) */

/*  grEndMfmaIndex:0, lwStartMfmaIndex:43, lwEndMfmaIndex:43  */
/*  numMfmaForLR:2, barrierMfmaIndex:45 */
/*  mfmaIndex:45  */
s_waitcnt lgkmcnt(0)                               // lgkmcnt=0 vmcnt=-1wait for prior local read local write old=0, new=0 newLW=0 newLR=0
/* pack scheduling: packAIdx:3, packBIdx:0 */
_v_lshl_or_b32 v[vgprValuA_X15_I0+0], v108, 0x8, v[vgprValuA_X15_I0+0] // pack two int8 Vgpr to one half Vgpr
_v_lshl_or_b32 v109, v110, 0x8, v109               // pack two int8 Vgpr to one half Vgpr
v_or_b32 v[vgprValuA_X15_I0+0], v[vgprValuA_X15_I0+0], v109 // pack two half Vgpr to one Vgpr
s_nop  1                                           // VALU packing writes to be consumed by matrix instruction
v_mfma_i32_32x32x8i8 a[0+0:15+0], v[vgprValuA_X15_I0+0+0+0], v[vgprValuB_X12_I0+0+3+0], a[0:15]
/*  mfmaIndex:46  */
v_mfma_i32_32x32x8i8 a[16+0:31+0], v[vgprValuA_X15_I0+0+0+0], v[vgprValuB_X12_I0+4+3+0], a[16:31]
/*  mfmaIndex:47  */
v_mfma_i32_32x32x8i8 a[32+0:47+0], v[vgprValuA_X15_I0+0+0+0], v[vgprValuB_X12_I0+8+3+0], a[32:47]
/* numPrefetchIter=0 */
/* dataAtIterA=14 numReadsIterA=15 skipReadsIterA=0 readsPerIterA=4 */
/* dataAtIterB=2 numReadsIterB=3 skipReadsIterB=0 readsPerIterB=3 */

/* Stores for OptNLL */
Summation_End_OptNLL_18:
/* endSummation: add vgpr [0...102) to pool */
.set NumFullBlocks, UNDEF
.set WgmRemainder1, UNDEF
.set MagicNumberWgmRemainder1, UNDEF

/* Mapping of Acc register -> C Vgpr register */
/* computeStoreVgprs */
v_lshrrev_b32 v4, 6, v[vgprSerial]                 // v4 = v[vgprSerial] / 64
v_lshrrev_b32 v1, 2, v4                            // v1 = v4 / 4
v_mul_lo_u32 v1, 0x20, v1                          // wave coordination offset 1
v_and_b32 v5, 31, v[vgprSerial]                    // v5 = v[vgprSerial] % 32
_v_add_lshl_u32 v1, v5, v1, 0                      // coordination 1 = vwb *(wave_id1 + tid1)
v_mul_lo_u32 v2, v1, s[sgprStrideC1J]              //  offset 1
v_mul_lo_u32 v3, v1, s[sgprStrideD1J]              //  offset 1
v_and_b32 v0, 63, v[vgprSerial]                    // v0 = v[vgprSerial] % 64
v_lshrrev_b32 v0, 5, v0                            // v0 = v0 / 32
v_lshlrev_b32 v0, 0x2, v0                          // thread0 * continuous_output
v_and_b32 v5, 3, v4                                // v5 = v4 % 4
v_mul_lo_u32 v5, 0x20, v5                          // wave coordination offset 0
_v_add_lshl_u32 v0, v5, v0, 0                      // coordination 0 = vwa *(wave_id0 + tid0)
s_mul_i32 s33, 128, s[sgprWorkGroup0]              // wgp0 * MT0
_v_add_u32 v0, s33, v0                             // coord 0 = (tid0/MI_m)*4 + waveG0*MIB_m + MT0*SG0
s_mul_i32 s33, 96, s[sgprWorkGroup1]               // wgp1 * MT1
_v_add_u32 v1, s33, v1                             // coord 1 = (tid0%MI_m) + waveG1*MIB_n + MT1*SG1
/* Store Remap Local Write address */
v_lshrrev_b32 v5, 8, v[vgprSerial]                 // v5 = v[vgprSerial] / 256
v_and_b32 v4, 255, v[vgprSerial]                   // v4 = v[vgprSerial] % 256
v_mul_lo_u32 v13, 0x20, v5                         // coord1 offset of LDS for each Wave
v_and_b32 v5, 0x1f, v[vgprSerial]                  // coord1 offset of LDS for each thread
_v_add_u32 v5, v13, v5                             // coord1 offset in MacroTile
v_mov_b32 v11, 0x84                                // lds stride = MT0 + PAD
v_mul_lo_u32 v9, v5, v11                           // lds coord1 offset = Col-id* lds stride
v_lshrrev_b32 v10, 6, v4                           // v10 = v4 / 64
v_and_b32 v4, 63, v4                               // v4 = v4 % 64
v_lshrrev_b32 v12, 0x5, v4                         // tid / matrixInstN
v_lshlrev_b32 v12, 0x2, v12                        // lds coord0 offset *= 4 (each thread hold 4 element)
v_mad_u32_u24 v12, 32, v10, v12                    // coord0 += waveCoord0 * wave M shape(blockM*MiM)
_v_add_lshl_u32 v7, v9, v12, 0x2                   // local write C address

/* Store Remap Local Read address */
v_lshrrev_b32 v5, 6, v[vgprSerial]                 // v5 = v[vgprSerial] / 64
v_and_b32 v4, 63, v[vgprSerial]                    // v4 = v[vgprSerial] % 64
v_mul_lo_u32 v13, 0x8, v5                          // coord1 offset of LDS for each Wave
v_lshrrev_b32 v10, 0x5, v4                         // tid / nThreadPerCol
_v_add_u32 v6, v13, v10                            // coord1 offset in MacroTile
v_mul_lo_u32 v9, v6, v11                           // lds coord1 offset = Col-id* lds stride
v_and_b32 v12, 0x1f, v4                            // coord0 offset of LDS for each thread
v_lshlrev_b32 v12, 0x2, v12                        // lds coord0 offset *= gwvw (each thread hold gwvw element)
_v_add_lshl_u32 v8, v9, v12, 0x2                   // local read C address

/* Store Remap global write coord0 and coord1 */
v_lshrrev_b32 v5, 8, v[vgprSerial]                 // v5 = v[vgprSerial] / 256
v_and_b32 v4, 255, v[vgprSerial]                   // v4 = v[vgprSerial] % 256
v_mul_lo_u32 v13, 0x20, v5                         // coord1 offset of global memory for each Wave
v_lshrrev_b32 v5, 6, v4                            // v5 = v4 / 64
v_and_b32 v4, 63, v4                               // v4 = v4 % 64
v_mad_u32_u24 v13, 8, v5, v13                      // waveCoord1 += waveCoord0 * MiN / WaveGroupM
v_lshrrev_b32 v10, 0x5, v4                         // tid / nThreadPerCol
_v_add_u32 v6, v13, v10                            // coord1 offset in MacroTile
s_mul_i32 s34, 0x80, s[sgprWorkGroup0]             // s34 = wg0*MT0
_v_add_co_u32 v4, vcc, s34, v12                    // coord0 = coord0 + wg0 * MT0
s_mul_i32 s35, MT1, s[sgprWorkGroup1]              // <- wg1*MT1
_v_add_co_u32 v5, vcc, s35, v6                     // coord1 = tid1*VW + wg1*MT1

s_waitcnt lgkmcnt(0) & vmcnt(0)                    // force waitcnt0
s_barrier //StoreRemap Start
GW_B0_E0_21:

/* edge=0, allocate 2 sgpr. perBatchTmpS=2 perBatchMaskS=0 perElementMaskS=0 elementsPerBatch=4 */
/* optSingleColVgpr=1 optSharedColVgpr=0 optSGPRUsage=BufferLoad_Mask optSrdIncForRow=1 */

/******************************************/
/* Global Write Batch #0 (d1,d0,vc1,vc0) = */
/*    (0,0,0,0:vw4); (0,1,0,0:vw4); (0,2,0,0:vw4); (0,3,0,0:vw4) */
/******************************************/

/* calc coords, apply mask, and issue loads (if necessary) */
/* (d1,vc1,d0,vc0)=(0,0,0,0) */
/* (d1,vc1,d0,vc0)=(0,0,1,0) */
	;; [unrolled: 1-line block ×4, first 2 shown]
_v_add_lshl_u32 v9, v3, v0, 0x2                    // optSingleColVgpr scaleToBpe: sharedAddrVgpr <- cinRowPtr + coord0, scaled by BPE. BSHERE:coord0=0, coord0Vgpr=0
v_accvgpr_read_b32 v[vgprValuC+16], acc0 // copy acc to vreg[0]
v_accvgpr_read_b32 v[vgprValuC+17], acc1 // copy acc to vreg[1]
v_accvgpr_read_b32 v[vgprValuC+18], acc2 // copy acc to vreg[2]
v_accvgpr_read_b32 v[vgprValuC+19], acc3 // copy acc to vreg[3]
v_accvgpr_read_b32 v[vgprValuC+20], acc4 // copy acc to vreg[4]
v_accvgpr_read_b32 v[vgprValuC+21], acc5 // copy acc to vreg[5]
v_accvgpr_read_b32 v[vgprValuC+22], acc6 // copy acc to vreg[6]
v_accvgpr_read_b32 v[vgprValuC+23], acc7 // copy acc to vreg[7]
v_accvgpr_read_b32 v[vgprValuC+24], acc8 // copy acc to vreg[8]
v_accvgpr_read_b32 v[vgprValuC+25], acc9 // copy acc to vreg[9]
v_accvgpr_read_b32 v[vgprValuC+26], acc10 // copy acc to vreg[10]
v_accvgpr_read_b32 v[vgprValuC+27], acc11 // copy acc to vreg[11]
v_accvgpr_read_b32 v[vgprValuC+28], acc12 // copy acc to vreg[12]
v_accvgpr_read_b32 v[vgprValuC+29], acc13 // copy acc to vreg[13]
v_accvgpr_read_b32 v[vgprValuC+30], acc14 // copy acc to vreg[14]
v_accvgpr_read_b32 v[vgprValuC+31], acc15 // copy acc to vreg[15]
s_nop 1                                            // 2 wait states required before reading vgpr

/* apply mask, calc new C and issue writes */
_ds_store_b128 v7, v[16:19], offset:0              // storeRemap lw
_ds_store_b128 v7, v[20:23], offset:32             // storeRemap lw
_ds_store_b128 v7, v[24:27], offset:64             // storeRemap lw
	;; [unrolled: 1-line block ×3, first 2 shown]

/* Handle local read and global write */
s_waitcnt lgkmcnt(0)                               // wait for LDS write
s_barrier //wait all lds write finished

_ds_load_b128 v[16:19], v8, offset:0               // storeRemap lr
_ds_load_b128 v[20:23], v8, offset:1056            // storeRemap lr
_ds_load_b128 v[24:27], v8, offset:2112            // storeRemap lr
_ds_load_b128 v[28:31], v8, offset:3168            // storeRemap lr

v_mov_b32 v13, v6                                  // coord1
v_mul_lo_u32 v13, v13, s[sgprStrideD1J]            // coord1 offset =  coord1 * StrideD
_v_add_lshl_u32 v13, v13, v4, 0x2                  // global write D address
s_waitcnt lgkmcnt(3)                               // wait for LDS read
_buffer_store_b128 v[16:19], v13, s[sgprSrdD:sgprSrdD+3], 0, offen, offset:0 // store D
_v_add_u32 v13, v6, 2                              // coord1 += nColPerLoad
v_mul_lo_u32 v13, v13, s[sgprStrideD1J]            // coord1 offset =  coord1 * StrideD
_v_add_lshl_u32 v13, v13, v4, 0x2                  // global write D address
s_waitcnt lgkmcnt(2)                               // wait for LDS read
_buffer_store_b128 v[20:23], v13, s[sgprSrdD:sgprSrdD+3], 0, offen, offset:0 // store D
_v_add_u32 v13, v6, 4                              // coord1 += nColPerLoad
	;; [unrolled: 5-line block ×3, first 2 shown]
v_mul_lo_u32 v13, v13, s[sgprStrideD1J]            // coord1 offset =  coord1 * StrideD
_v_add_lshl_u32 v13, v13, v4, 0x2                  // global write D address
s_waitcnt lgkmcnt(0)                               // wait for LDS read
_buffer_store_b128 v[28:31], v13, s[sgprSrdD:sgprSrdD+3], 0, offen, offset:0 // store D

s_barrier //wait all lds read finished
s_nop 0                                            // 1 wait state required when next inst writes vgprs held by previous dwordx4 store inst
/* optSingleColVgpr=1 optSharedColVgpr=0 optSGPRUsage=BufferLoad_Mask optSrdIncForRow=1 */

/******************************************/
/* Global Write Batch #1 (d1,d0,vc1,vc0) = */
/*    (1,0,0,0:vw4); (1,1,0,0:vw4); (1,2,0,0:vw4); (1,3,0,0:vw4) */
/******************************************/

/* calc coords, apply mask, and issue loads (if necessary) */
/* (d1,vc1,d0,vc0)=(1,0,0,0) */
/* (d1,vc1,d0,vc0)=(1,0,1,0) */
/* (d1,vc1,d0,vc0)=(1,0,2,0) */
/* (d1,vc1,d0,vc0)=(1,0,3,0) */
v_accvgpr_read_b32 v[vgprValuC+16], acc16 // copy acc to vreg[16]
v_accvgpr_read_b32 v[vgprValuC+17], acc17 // copy acc to vreg[17]
v_accvgpr_read_b32 v[vgprValuC+18], acc18 // copy acc to vreg[18]
v_accvgpr_read_b32 v[vgprValuC+19], acc19 // copy acc to vreg[19]
v_accvgpr_read_b32 v[vgprValuC+20], acc20 // copy acc to vreg[20]
v_accvgpr_read_b32 v[vgprValuC+21], acc21 // copy acc to vreg[21]
v_accvgpr_read_b32 v[vgprValuC+22], acc22 // copy acc to vreg[22]
v_accvgpr_read_b32 v[vgprValuC+23], acc23 // copy acc to vreg[23]
v_accvgpr_read_b32 v[vgprValuC+24], acc24 // copy acc to vreg[24]
v_accvgpr_read_b32 v[vgprValuC+25], acc25 // copy acc to vreg[25]
v_accvgpr_read_b32 v[vgprValuC+26], acc26 // copy acc to vreg[26]
v_accvgpr_read_b32 v[vgprValuC+27], acc27 // copy acc to vreg[27]
v_accvgpr_read_b32 v[vgprValuC+28], acc28 // copy acc to vreg[28]
v_accvgpr_read_b32 v[vgprValuC+29], acc29 // copy acc to vreg[29]
v_accvgpr_read_b32 v[vgprValuC+30], acc30 // copy acc to vreg[30]
v_accvgpr_read_b32 v[vgprValuC+31], acc31 // copy acc to vreg[31]
s_nop 1                                            // 2 wait states required before reading vgpr

/* apply mask, calc new C and issue writes */

/* StoreRemap: shift coord1 address */
s_mul_i32 s34, s[sgprStrideD1J], 128               // scale StrideD *= numRows(32) * bpe
s_add_u32  s[sgprSrdD+0], s[sgprSrdD+0], s34       // incToNextRow: gra SRD += inc(lower)
s_addc_u32  s[sgprSrdD+1], s[sgprSrdD+1], 0        // incToNextRow: gra SRD += inc(upper)
v_mov_b32 v10, 32                                  // set shift rows
_v_add_u32 v5, v5, v10                             // shift storeRemap coord1
_ds_store_b128 v7, v[16:19], offset:0              // storeRemap lw
_ds_store_b128 v7, v[20:23], offset:32             // storeRemap lw
_ds_store_b128 v7, v[24:27], offset:64             // storeRemap lw
	;; [unrolled: 1-line block ×3, first 2 shown]

/* Handle local read and global write */
s_waitcnt lgkmcnt(0)                               // wait for LDS write
s_barrier //wait all lds write finished

_ds_load_b128 v[16:19], v8, offset:0               // storeRemap lr
_ds_load_b128 v[20:23], v8, offset:1056            // storeRemap lr
_ds_load_b128 v[24:27], v8, offset:2112            // storeRemap lr
	;; [unrolled: 1-line block ×3, first 2 shown]

v_mov_b32 v13, v6                                  // coord1
v_mul_lo_u32 v13, v13, s[sgprStrideD1J]            // coord1 offset =  coord1 * StrideD
_v_add_lshl_u32 v13, v13, v4, 0x2                  // global write D address
s_waitcnt lgkmcnt(3)                               // wait for LDS read
_buffer_store_b128 v[16:19], v13, s[sgprSrdD:sgprSrdD+3], 0, offen, offset:0 // store D
_v_add_u32 v13, v6, 2                              // coord1 += nColPerLoad
v_mul_lo_u32 v13, v13, s[sgprStrideD1J]            // coord1 offset =  coord1 * StrideD
_v_add_lshl_u32 v13, v13, v4, 0x2                  // global write D address
s_waitcnt lgkmcnt(2)                               // wait for LDS read
_buffer_store_b128 v[20:23], v13, s[sgprSrdD:sgprSrdD+3], 0, offen, offset:0 // store D
_v_add_u32 v13, v6, 4                              // coord1 += nColPerLoad
	;; [unrolled: 5-line block ×3, first 2 shown]
v_mul_lo_u32 v13, v13, s[sgprStrideD1J]            // coord1 offset =  coord1 * StrideD
_v_add_lshl_u32 v13, v13, v4, 0x2                  // global write D address
s_waitcnt lgkmcnt(0)                               // wait for LDS read
_buffer_store_b128 v[28:31], v13, s[sgprSrdD:sgprSrdD+3], 0, offen, offset:0 // store D

s_barrier //wait all lds read finished
s_nop 0                                            // 1 wait state required when next inst writes vgprs held by previous dwordx4 store inst
/* optSingleColVgpr=1 optSharedColVgpr=0 optSGPRUsage=BufferLoad_Mask optSrdIncForRow=1 */

/******************************************/
/* Global Write Batch #2 (d1,d0,vc1,vc0) = */
/*    (2,0,0,0:vw4); (2,1,0,0:vw4); (2,2,0,0:vw4); (2,3,0,0:vw4) */
/******************************************/

/* calc coords, apply mask, and issue loads (if necessary) */
/* (d1,vc1,d0,vc0)=(2,0,0,0) */
/* (d1,vc1,d0,vc0)=(2,0,1,0) */
	;; [unrolled: 1-line block ×4, first 2 shown]
v_accvgpr_read_b32 v[vgprValuC+16], acc32 // copy acc to vreg[32]
v_accvgpr_read_b32 v[vgprValuC+17], acc33 // copy acc to vreg[33]
v_accvgpr_read_b32 v[vgprValuC+18], acc34 // copy acc to vreg[34]
v_accvgpr_read_b32 v[vgprValuC+19], acc35 // copy acc to vreg[35]
v_accvgpr_read_b32 v[vgprValuC+20], acc36 // copy acc to vreg[36]
v_accvgpr_read_b32 v[vgprValuC+21], acc37 // copy acc to vreg[37]
v_accvgpr_read_b32 v[vgprValuC+22], acc38 // copy acc to vreg[38]
v_accvgpr_read_b32 v[vgprValuC+23], acc39 // copy acc to vreg[39]
v_accvgpr_read_b32 v[vgprValuC+24], acc40 // copy acc to vreg[40]
v_accvgpr_read_b32 v[vgprValuC+25], acc41 // copy acc to vreg[41]
v_accvgpr_read_b32 v[vgprValuC+26], acc42 // copy acc to vreg[42]
v_accvgpr_read_b32 v[vgprValuC+27], acc43 // copy acc to vreg[43]
v_accvgpr_read_b32 v[vgprValuC+28], acc44 // copy acc to vreg[44]
v_accvgpr_read_b32 v[vgprValuC+29], acc45 // copy acc to vreg[45]
v_accvgpr_read_b32 v[vgprValuC+30], acc46 // copy acc to vreg[46]
v_accvgpr_read_b32 v[vgprValuC+31], acc47 // copy acc to vreg[47]
s_nop 1                                            // 2 wait states required before reading vgpr

/* apply mask, calc new C and issue writes */

/* StoreRemap: shift coord1 address */
s_mul_i32 s34, s[sgprStrideD1J], 128               // scale StrideD *= numRows(32) * bpe
s_add_u32  s[sgprSrdD+0], s[sgprSrdD+0], s34       // incToNextRow: gra SRD += inc(lower)
s_addc_u32  s[sgprSrdD+1], s[sgprSrdD+1], 0        // incToNextRow: gra SRD += inc(upper)
v_mov_b32 v10, 32                                  // set shift rows
_v_add_u32 v5, v5, v10                             // shift storeRemap coord1
_ds_store_b128 v7, v[16:19], offset:0              // storeRemap lw
_ds_store_b128 v7, v[20:23], offset:32             // storeRemap lw
_ds_store_b128 v7, v[24:27], offset:64             // storeRemap lw
	;; [unrolled: 1-line block ×3, first 2 shown]

/* Handle local read and global write */
s_waitcnt lgkmcnt(0)                               // wait for LDS write
s_barrier //wait all lds write finished

_ds_load_b128 v[16:19], v8, offset:0               // storeRemap lr
_ds_load_b128 v[20:23], v8, offset:1056            // storeRemap lr
_ds_load_b128 v[24:27], v8, offset:2112            // storeRemap lr
	;; [unrolled: 1-line block ×3, first 2 shown]

v_mov_b32 v13, v6                                  // coord1
v_mul_lo_u32 v13, v13, s[sgprStrideD1J]            // coord1 offset =  coord1 * StrideD
_v_add_lshl_u32 v13, v13, v4, 0x2                  // global write D address
s_waitcnt lgkmcnt(3)                               // wait for LDS read
_buffer_store_b128 v[16:19], v13, s[sgprSrdD:sgprSrdD+3], 0, offen, offset:0 // store D
_v_add_u32 v13, v6, 2                              // coord1 += nColPerLoad
v_mul_lo_u32 v13, v13, s[sgprStrideD1J]            // coord1 offset =  coord1 * StrideD
_v_add_lshl_u32 v13, v13, v4, 0x2                  // global write D address
s_waitcnt lgkmcnt(2)                               // wait for LDS read
_buffer_store_b128 v[20:23], v13, s[sgprSrdD:sgprSrdD+3], 0, offen, offset:0 // store D
_v_add_u32 v13, v6, 4                              // coord1 += nColPerLoad
	;; [unrolled: 5-line block ×3, first 2 shown]
v_mul_lo_u32 v13, v13, s[sgprStrideD1J]            // coord1 offset =  coord1 * StrideD
_v_add_lshl_u32 v13, v13, v4, 0x2                  // global write D address
s_waitcnt lgkmcnt(0)                               // wait for LDS read
_buffer_store_b128 v[28:31], v13, s[sgprSrdD:sgprSrdD+3], 0, offen, offset:0 // store D

s_barrier //wait all lds read finished
s_nop 0                                            // 1 wait state required when next inst writes vgprs held by previous dwordx4 store inst
s_branch label_GW_End_23                           // jump to end
label_GW_End_23:

s_endpgm                                           // Kernel End
OptNLL_End_17:


/******************************************/
/* Ord. NoLoadLoop - Begin                                      */
/******************************************/


	;; [unrolled: 1-line block ×4, first 2 shown]
/* iter 0 (last unrolled loop) */

/*  grEndMfmaIndex:0, lwStartMfmaIndex:43, lwEndMfmaIndex:43  */
/*  numMfmaForLR:2, barrierMfmaIndex:45 */
/*  mfmaIndex:0  */
s_waitcnt lgkmcnt(0)                               // lgkmcnt=0 vmcnt=-1wait for prior local read local write old=0, new=0 newLW=0 newLR=0
/* pack scheduling: packAIdx:3, packBIdx:0 */
_v_lshl_or_b32 v[vgprValuA_X0_I0+0], v105, 0x8, v[vgprValuA_X0_I0+0] // pack two int8 Vgpr to one half Vgpr
_v_lshl_or_b32 v106, v107, 0x8, v106               // pack two int8 Vgpr to one half Vgpr
v_or_b32 v[vgprValuA_X0_I0+0], v[vgprValuA_X0_I0+0], v106 // pack two half Vgpr to one Vgpr
s_nop  1                                           // VALU packing writes to be consumed by matrix instruction
v_mfma_i32_32x32x8i8 a[0+0:15+0], v[vgprValuA_X0_I0+0+0+0], v[vgprValuB_X0_I0+0+0+0], a[0:15]
/*  mfmaIndex:1  */
_ds_load_u8 v[vgprValuA_X1_I0+0], v[vgprLocalReadAddrA] offset:512 // L -> Reg lro=512 swapByteOffset=0 ti=128 vIdx=0 rIdx=0 oIdx=0 buffer=1 iui=0
_ds_load_u8 v108, v[vgprLocalReadAddrA] offset:640 // L -> Reg lro=512 swapByteOffset=0 ti=128 vIdx=0 rIdx=1 oIdx=0 buffer=1 iui=0
_ds_load_u8_d16_hi v109, v[vgprLocalReadAddrA] offset:768 // L -> Reg lro=512 swapByteOffset=0 ti=128 vIdx=0 rIdx=2 oIdx=0 buffer=1 iui=0
_ds_load_u8_d16_hi v110, v[vgprLocalReadAddrA] offset:896 // L -> Reg lro=512 swapByteOffset=0 ti=128 vIdx=0 rIdx=3 oIdx=0 buffer=1 iui=0
_ds_load_b128 v[vgprValuB_X4_I0+0:vgprValuB_X4_I0+0+3], v[vgprLocalReadAddrB] offset:32 // L -> Reg lro=32 swapByteOffset=0 ti=32 vIdx=0 rIdx=0 oIdx=0 buffer=4 iui=0
v_mfma_i32_32x32x8i8 a[16+0:31+0], v[vgprValuA_X0_I0+0+0+0], v[vgprValuB_X0_I0+4+0+0], a[16:31]
/*  mfmaIndex:2  */
_ds_load_b128 v[vgprValuB_X4_I0+4:vgprValuB_X4_I0+4+3], v[vgprLocalReadAddrB] offset:4640 // L -> Reg lro=32 swapByteOffset=0 ti=32 vIdx=1 rIdx=0 oIdx=0 buffer=4 iui=0
_ds_load_b128 v[vgprValuB_X4_I0+8:vgprValuB_X4_I0+8+3], v[vgprLocalReadAddrB] offset:9248 // L -> Reg lro=32 swapByteOffset=0 ti=32 vIdx=2 rIdx=0 oIdx=0 buffer=4 iui=0
/* localReadsVacancy: latencyLeft 5 */
_ds_load_u8 v[vgprValuA_X2_I0+0], v[vgprLocalReadAddrA] offset:1024 // L -> Reg lro=1024 swapByteOffset=0 ti=128 vIdx=0 rIdx=0 oIdx=0 buffer=2 iui=0
v_mfma_i32_32x32x8i8 a[32+0:47+0], v[vgprValuA_X0_I0+0+0+0], v[vgprValuB_X0_I0+8+0+0], a[32:47]
/* numPrefetchIter=0 */
/* dataAtIterA=-1 numReadsIterA=1 skipReadsIterA=1 readsPerIterA=4 */
/* dataAtIterB=-1 numReadsIterB=1 skipReadsIterB=1 readsPerIterB=3 */


/* iter 1 (last unrolled loop) */

/*  grEndMfmaIndex:0, lwStartMfmaIndex:43, lwEndMfmaIndex:43  */
/*  numMfmaForLR:2, barrierMfmaIndex:45 */
/*  mfmaIndex:3  */
_ds_load_u8 v105, v[vgprLocalReadAddrA] offset:1152 // L -> Reg lro=1024 swapByteOffset=0 ti=128 vIdx=0 rIdx=1 oIdx=0 buffer=2 iui=0
_ds_load_u8_d16_hi v106, v[vgprLocalReadAddrA] offset:1280 // L -> Reg lro=1024 swapByteOffset=0 ti=128 vIdx=0 rIdx=2 oIdx=0 buffer=2 iui=0
_ds_load_u8_d16_hi v107, v[vgprLocalReadAddrA] offset:1408 // L -> Reg lro=1024 swapByteOffset=0 ti=128 vIdx=0 rIdx=3 oIdx=0 buffer=2 iui=0
_ds_load_b128 v[vgprValuB_X8_I0+0:vgprValuB_X8_I0+0+3], v[vgprLocalReadAddrB] offset:64 // L -> Reg lro=64 swapByteOffset=0 ti=32 vIdx=0 rIdx=0 oIdx=0 buffer=8 iui=0
s_waitcnt lgkmcnt(5)                               // lgkmcnt=0 vmcnt=-1wait for prior local read local write old=1, new=5 newLW=0 newLR=4
/* pack scheduling: packAIdx:3, packBIdx:0 */
_v_lshl_or_b32 v[vgprValuA_X1_I0+0], v108, 0x8, v[vgprValuA_X1_I0+0] // pack two int8 Vgpr to one half Vgpr
_v_lshl_or_b32 v109, v110, 0x8, v109               // pack two int8 Vgpr to one half Vgpr
v_or_b32 v[vgprValuA_X1_I0+0], v[vgprValuA_X1_I0+0], v109 // pack two half Vgpr to one Vgpr
s_nop  1                                           // VALU packing writes to be consumed by matrix instruction
v_mfma_i32_32x32x8i8 a[0+0:15+0], v[vgprValuA_X1_I0+0+0+0], v[vgprValuB_X0_I0+0+1+0], a[0:15]
/*  mfmaIndex:4  */
_ds_load_b128 v[vgprValuB_X8_I0+4:vgprValuB_X8_I0+4+3], v[vgprLocalReadAddrB] offset:4672 // L -> Reg lro=64 swapByteOffset=0 ti=32 vIdx=1 rIdx=0 oIdx=0 buffer=8 iui=0
_ds_load_b128 v[vgprValuB_X8_I0+8:vgprValuB_X8_I0+8+3], v[vgprLocalReadAddrB] offset:9280 // L -> Reg lro=64 swapByteOffset=0 ti=32 vIdx=2 rIdx=0 oIdx=0 buffer=8 iui=0
/* localReadsVacancy: latencyLeft 5 */
_ds_load_u8 v[vgprValuA_X3_I0+0], v[vgprLocalReadAddrA] offset:1536 // L -> Reg lro=1536 swapByteOffset=0 ti=128 vIdx=0 rIdx=0 oIdx=0 buffer=3 iui=0
v_mfma_i32_32x32x8i8 a[16+0:31+0], v[vgprValuA_X1_I0+0+0+0], v[vgprValuB_X0_I0+4+1+0], a[16:31]
/*  mfmaIndex:5  */
/* localReadsVacancy: latencyLeft 13 */
_ds_load_b128 v[vgprValuB_X12_I0+0:vgprValuB_X12_I0+0+3], v[vgprLocalReadAddrB] offset:96 // L -> Reg lro=96 swapByteOffset=0 ti=32 vIdx=0 rIdx=0 oIdx=0 buffer=12 iui=0
_ds_load_b128 v[vgprValuB_X12_I0+4:vgprValuB_X12_I0+4+3], v[vgprLocalReadAddrB] offset:4704 // L -> Reg lro=96 swapByteOffset=0 ti=32 vIdx=1 rIdx=0 oIdx=0 buffer=12 iui=0
_ds_load_b128 v[vgprValuB_X12_I0+8:vgprValuB_X12_I0+8+3], v[vgprLocalReadAddrB] offset:9312 // L -> Reg lro=96 swapByteOffset=0 ti=32 vIdx=2 rIdx=0 oIdx=0 buffer=12 iui=0
v_mfma_i32_32x32x8i8 a[32+0:47+0], v[vgprValuA_X1_I0+0+0+0], v[vgprValuB_X0_I0+8+1+0], a[32:47]
/* numPrefetchIter=0 */
/* dataAtIterA=0 numReadsIterA=2 skipReadsIterA=1 readsPerIterA=4 */
/* dataAtIterB=-1 numReadsIterB=2 skipReadsIterB=0 readsPerIterB=3 */


/* iter 2 (last unrolled loop) */

/*  grEndMfmaIndex:0, lwStartMfmaIndex:43, lwEndMfmaIndex:43  */
/*  numMfmaForLR:2, barrierMfmaIndex:45 */
/*  mfmaIndex:6  */
_ds_load_u8 v108, v[vgprLocalReadAddrA] offset:1664 // L -> Reg lro=1536 swapByteOffset=0 ti=128 vIdx=0 rIdx=1 oIdx=0 buffer=3 iui=0
_ds_load_u8_d16_hi v109, v[vgprLocalReadAddrA] offset:1792 // L -> Reg lro=1536 swapByteOffset=0 ti=128 vIdx=0 rIdx=2 oIdx=0 buffer=3 iui=0
_ds_load_u8_d16_hi v110, v[vgprLocalReadAddrA] offset:1920 // L -> Reg lro=1536 swapByteOffset=0 ti=128 vIdx=0 rIdx=3 oIdx=0 buffer=3 iui=0
/* localReadsVacancy: latencyLeft 7 */
_ds_load_u8 v[vgprValuA_X4_I0+0], v[vgprLocalReadAddrA] offset:4096 // L -> Reg lro=4096 swapByteOffset=0 ti=128 vIdx=0 rIdx=0 oIdx=0 buffer=4 iui=0
_ds_load_u8 v[vgprValuA_X5_I0+0], v[vgprLocalReadAddrA] offset:4608 // L -> Reg lro=4608 swapByteOffset=0 ti=128 vIdx=0 rIdx=0 oIdx=0 buffer=5 iui=0
_ds_load_u8 v[vgprValuA_X6_I0+0], v[vgprLocalReadAddrA] offset:5120 // L -> Reg lro=5120 swapByteOffset=0 ti=128 vIdx=0 rIdx=0 oIdx=0 buffer=6 iui=0
s_waitcnt lgkmcnt(10)                              // lgkmcnt=0 vmcnt=-1wait for prior local read local write old=4, new=7 newLW=0 newLR=3
/* pack scheduling: packAIdx:3, packBIdx:0 */
_v_lshl_or_b32 v[vgprValuA_X2_I0+0], v105, 0x8, v[vgprValuA_X2_I0+0] // pack two int8 Vgpr to one half Vgpr
_v_lshl_or_b32 v106, v107, 0x8, v106               // pack two int8 Vgpr to one half Vgpr
v_or_b32 v[vgprValuA_X2_I0+0], v[vgprValuA_X2_I0+0], v106 // pack two half Vgpr to one Vgpr
s_nop  1                                           // VALU packing writes to be consumed by matrix instruction
v_mfma_i32_32x32x8i8 a[0+0:15+0], v[vgprValuA_X2_I0+0+0+0], v[vgprValuB_X0_I0+0+2+0], a[0:15]
/*  mfmaIndex:7  */
/* localReadsVacancy: latencyLeft 13 */
_ds_load_u8 v[vgprValuA_X7_I0+0], v[vgprLocalReadAddrA] offset:5632 // L -> Reg lro=5632 swapByteOffset=0 ti=128 vIdx=0 rIdx=0 oIdx=0 buffer=7 iui=0
_ds_load_u8 v[vgprValuA_X8_I0+0], v[vgprLocalReadAddrA] offset:8192 // L -> Reg lro=8192 swapByteOffset=0 ti=128 vIdx=0 rIdx=0 oIdx=0 buffer=8 iui=0
_ds_load_u8 v[vgprValuA_X9_I0+0], v[vgprLocalReadAddrA] offset:8704 // L -> Reg lro=8704 swapByteOffset=0 ti=128 vIdx=0 rIdx=0 oIdx=0 buffer=9 iui=0
_ds_load_u8 v[vgprValuA_X10_I0+0], v[vgprLocalReadAddrA] offset:9216 // L -> Reg lro=9216 swapByteOffset=0 ti=128 vIdx=0 rIdx=0 oIdx=0 buffer=10 iui=0
_ds_load_u8 v[vgprValuA_X11_I0+0], v[vgprLocalReadAddrA] offset:9728 // L -> Reg lro=9728 swapByteOffset=0 ti=128 vIdx=0 rIdx=0 oIdx=0 buffer=11 iui=0
_ds_load_u8 v[vgprValuA_X12_I0+0], v[vgprLocalReadAddrA] offset:12288 // L -> Reg lro=12288 swapByteOffset=0 ti=128 vIdx=0 rIdx=0 oIdx=0 buffer=12 iui=0
v_mfma_i32_32x32x8i8 a[16+0:31+0], v[vgprValuA_X2_I0+0+0+0], v[vgprValuB_X0_I0+4+2+0], a[16:31]
/*  mfmaIndex:8  */
/* localReadsVacancy: latencyLeft 13 */
_ds_load_u8 v[vgprValuA_X13_I0+0], v[vgprLocalReadAddrA] offset:12800 // L -> Reg lro=12800 swapByteOffset=0 ti=128 vIdx=0 rIdx=0 oIdx=0 buffer=13 iui=0
_ds_load_u8 v[vgprValuA_X14_I0+0], v[vgprLocalReadAddrA] offset:13312 // L -> Reg lro=13312 swapByteOffset=0 ti=128 vIdx=0 rIdx=0 oIdx=0 buffer=14 iui=0
_ds_load_u8 v[vgprValuA_X15_I0+0], v[vgprLocalReadAddrA] offset:13824 // L -> Reg lro=13824 swapByteOffset=0 ti=128 vIdx=0 rIdx=0 oIdx=0 buffer=15 iui=0
v_mfma_i32_32x32x8i8 a[32+0:47+0], v[vgprValuA_X2_I0+0+0+0], v[vgprValuB_X0_I0+8+2+0], a[32:47]
/* numPrefetchIter=0 */
/* dataAtIterA=1 numReadsIterA=3 skipReadsIterA=1 readsPerIterA=4 */
/* dataAtIterB=-1 numReadsIterB=3 skipReadsIterB=0 readsPerIterB=3 */


/* iter 3 (last unrolled loop) */

/*  grEndMfmaIndex:0, lwStartMfmaIndex:43, lwEndMfmaIndex:43  */
/*  numMfmaForLR:2, barrierMfmaIndex:45 */
/*  mfmaIndex:9  */
_ds_load_u8 v105, v[vgprLocalReadAddrA] offset:4224 // L -> Reg lro=4096 swapByteOffset=0 ti=128 vIdx=0 rIdx=1 oIdx=0 buffer=4 iui=0
_ds_load_u8_d16_hi v106, v[vgprLocalReadAddrA] offset:4352 // L -> Reg lro=4096 swapByteOffset=0 ti=128 vIdx=0 rIdx=2 oIdx=0 buffer=4 iui=0
_ds_load_u8_d16_hi v107, v[vgprLocalReadAddrA] offset:4480 // L -> Reg lro=4096 swapByteOffset=0 ti=128 vIdx=0 rIdx=3 oIdx=0 buffer=4 iui=0
/* localReadsVacancy: latencyLeft 7 */
s_waitcnt lgkmcnt(15)                              // lgkmcnt=0 vmcnt=-1wait for prior local read local write old=1, new=4 newLW=0 newLR=3
/* pack scheduling: packAIdx:3, packBIdx:0 */
_v_lshl_or_b32 v[vgprValuA_X3_I0+0], v108, 0x8, v[vgprValuA_X3_I0+0] // pack two int8 Vgpr to one half Vgpr
_v_lshl_or_b32 v109, v110, 0x8, v109               // pack two int8 Vgpr to one half Vgpr
v_or_b32 v[vgprValuA_X3_I0+0], v[vgprValuA_X3_I0+0], v109 // pack two half Vgpr to one Vgpr
s_nop  1                                           // VALU packing writes to be consumed by matrix instruction
v_mfma_i32_32x32x8i8 a[0+0:15+0], v[vgprValuA_X3_I0+0+0+0], v[vgprValuB_X0_I0+0+3+0], a[0:15]
/*  mfmaIndex:10  */
/* localReadsVacancy: latencyLeft 13 */
v_mfma_i32_32x32x8i8 a[16+0:31+0], v[vgprValuA_X3_I0+0+0+0], v[vgprValuB_X0_I0+4+3+0], a[16:31]
/*  mfmaIndex:11  */
/* localReadsVacancy: latencyLeft 13 */
v_mfma_i32_32x32x8i8 a[32+0:47+0], v[vgprValuA_X3_I0+0+0+0], v[vgprValuB_X0_I0+8+3+0], a[32:47]
/* numPrefetchIter=0 */
/* dataAtIterA=2 numReadsIterA=4 skipReadsIterA=1 readsPerIterA=4 */
/* dataAtIterB=-1 numReadsIterB=3 skipReadsIterB=0 readsPerIterB=3 */


/* iter 4 (last unrolled loop) */

/*  grEndMfmaIndex:0, lwStartMfmaIndex:43, lwEndMfmaIndex:43  */
/*  numMfmaForLR:2, barrierMfmaIndex:45 */
/*  mfmaIndex:12  */
_ds_load_u8 v108, v[vgprLocalReadAddrA] offset:4736 // L -> Reg lro=4608 swapByteOffset=0 ti=128 vIdx=0 rIdx=1 oIdx=0 buffer=5 iui=0
_ds_load_u8_d16_hi v109, v[vgprLocalReadAddrA] offset:4864 // L -> Reg lro=4608 swapByteOffset=0 ti=128 vIdx=0 rIdx=2 oIdx=0 buffer=5 iui=0
_ds_load_u8_d16_hi v110, v[vgprLocalReadAddrA] offset:4992 // L -> Reg lro=4608 swapByteOffset=0 ti=128 vIdx=0 rIdx=3 oIdx=0 buffer=5 iui=0
/* localReadsVacancy: latencyLeft 7 */
s_waitcnt lgkmcnt(3)                               // lgkmcnt=0 vmcnt=-1wait for prior local read local write old=0, new=3 newLW=0 newLR=3
/* pack scheduling: packAIdx:3, packBIdx:0 */
_v_lshl_or_b32 v[vgprValuA_X4_I0+0], v105, 0x8, v[vgprValuA_X4_I0+0] // pack two int8 Vgpr to one half Vgpr
_v_lshl_or_b32 v106, v107, 0x8, v106               // pack two int8 Vgpr to one half Vgpr
v_or_b32 v[vgprValuA_X4_I0+0], v[vgprValuA_X4_I0+0], v106 // pack two half Vgpr to one Vgpr
s_nop  1                                           // VALU packing writes to be consumed by matrix instruction
v_mfma_i32_32x32x8i8 a[0+0:15+0], v[vgprValuA_X4_I0+0+0+0], v[vgprValuB_X4_I0+0+0+0], a[0:15]
/*  mfmaIndex:13  */
/* localReadsVacancy: latencyLeft 13 */
v_mfma_i32_32x32x8i8 a[16+0:31+0], v[vgprValuA_X4_I0+0+0+0], v[vgprValuB_X4_I0+4+0+0], a[16:31]
/*  mfmaIndex:14  */
/* localReadsVacancy: latencyLeft 13 */
v_mfma_i32_32x32x8i8 a[32+0:47+0], v[vgprValuA_X4_I0+0+0+0], v[vgprValuB_X4_I0+8+0+0], a[32:47]
/* numPrefetchIter=0 */
/* dataAtIterA=3 numReadsIterA=5 skipReadsIterA=1 readsPerIterA=4 */
/* dataAtIterB=0 numReadsIterB=3 skipReadsIterB=0 readsPerIterB=3 */


/* iter 5 (last unrolled loop) */

/*  grEndMfmaIndex:0, lwStartMfmaIndex:43, lwEndMfmaIndex:43  */
/*  numMfmaForLR:2, barrierMfmaIndex:45 */
/*  mfmaIndex:15  */
_ds_load_u8 v105, v[vgprLocalReadAddrA] offset:5248 // L -> Reg lro=5120 swapByteOffset=0 ti=128 vIdx=0 rIdx=1 oIdx=0 buffer=6 iui=0
_ds_load_u8_d16_hi v106, v[vgprLocalReadAddrA] offset:5376 // L -> Reg lro=5120 swapByteOffset=0 ti=128 vIdx=0 rIdx=2 oIdx=0 buffer=6 iui=0
_ds_load_u8_d16_hi v107, v[vgprLocalReadAddrA] offset:5504 // L -> Reg lro=5120 swapByteOffset=0 ti=128 vIdx=0 rIdx=3 oIdx=0 buffer=6 iui=0
/* localReadsVacancy: latencyLeft 7 */
s_waitcnt lgkmcnt(3)                               // lgkmcnt=0 vmcnt=-1wait for prior local read local write old=0, new=3 newLW=0 newLR=3
/* pack scheduling: packAIdx:3, packBIdx:0 */
_v_lshl_or_b32 v[vgprValuA_X5_I0+0], v108, 0x8, v[vgprValuA_X5_I0+0] // pack two int8 Vgpr to one half Vgpr
_v_lshl_or_b32 v109, v110, 0x8, v109               // pack two int8 Vgpr to one half Vgpr
v_or_b32 v[vgprValuA_X5_I0+0], v[vgprValuA_X5_I0+0], v109 // pack two half Vgpr to one Vgpr
s_nop  1                                           // VALU packing writes to be consumed by matrix instruction
v_mfma_i32_32x32x8i8 a[0+0:15+0], v[vgprValuA_X5_I0+0+0+0], v[vgprValuB_X4_I0+0+1+0], a[0:15]
/*  mfmaIndex:16  */
/* localReadsVacancy: latencyLeft 13 */
v_mfma_i32_32x32x8i8 a[16+0:31+0], v[vgprValuA_X5_I0+0+0+0], v[vgprValuB_X4_I0+4+1+0], a[16:31]
/*  mfmaIndex:17  */
/* localReadsVacancy: latencyLeft 13 */
v_mfma_i32_32x32x8i8 a[32+0:47+0], v[vgprValuA_X5_I0+0+0+0], v[vgprValuB_X4_I0+8+1+0], a[32:47]
/* numPrefetchIter=0 */
/* dataAtIterA=4 numReadsIterA=6 skipReadsIterA=1 readsPerIterA=4 */
/* dataAtIterB=0 numReadsIterB=3 skipReadsIterB=0 readsPerIterB=3 */


/* iter 6 (last unrolled loop) */

/*  grEndMfmaIndex:0, lwStartMfmaIndex:43, lwEndMfmaIndex:43  */
/*  numMfmaForLR:2, barrierMfmaIndex:45 */
/*  mfmaIndex:18  */
_ds_load_u8 v108, v[vgprLocalReadAddrA] offset:5760 // L -> Reg lro=5632 swapByteOffset=0 ti=128 vIdx=0 rIdx=1 oIdx=0 buffer=7 iui=0
_ds_load_u8_d16_hi v109, v[vgprLocalReadAddrA] offset:5888 // L -> Reg lro=5632 swapByteOffset=0 ti=128 vIdx=0 rIdx=2 oIdx=0 buffer=7 iui=0
_ds_load_u8_d16_hi v110, v[vgprLocalReadAddrA] offset:6016 // L -> Reg lro=5632 swapByteOffset=0 ti=128 vIdx=0 rIdx=3 oIdx=0 buffer=7 iui=0
/* localReadsVacancy: latencyLeft 7 */
s_waitcnt lgkmcnt(3)                               // lgkmcnt=0 vmcnt=-1wait for prior local read local write old=0, new=3 newLW=0 newLR=3
/* pack scheduling: packAIdx:3, packBIdx:0 */
_v_lshl_or_b32 v[vgprValuA_X6_I0+0], v105, 0x8, v[vgprValuA_X6_I0+0] // pack two int8 Vgpr to one half Vgpr
_v_lshl_or_b32 v106, v107, 0x8, v106               // pack two int8 Vgpr to one half Vgpr
v_or_b32 v[vgprValuA_X6_I0+0], v[vgprValuA_X6_I0+0], v106 // pack two half Vgpr to one Vgpr
s_nop  1                                           // VALU packing writes to be consumed by matrix instruction
v_mfma_i32_32x32x8i8 a[0+0:15+0], v[vgprValuA_X6_I0+0+0+0], v[vgprValuB_X4_I0+0+2+0], a[0:15]
/*  mfmaIndex:19  */
/* localReadsVacancy: latencyLeft 13 */
v_mfma_i32_32x32x8i8 a[16+0:31+0], v[vgprValuA_X6_I0+0+0+0], v[vgprValuB_X4_I0+4+2+0], a[16:31]
/*  mfmaIndex:20  */
/* localReadsVacancy: latencyLeft 13 */
v_mfma_i32_32x32x8i8 a[32+0:47+0], v[vgprValuA_X6_I0+0+0+0], v[vgprValuB_X4_I0+8+2+0], a[32:47]
/* numPrefetchIter=0 */
/* dataAtIterA=5 numReadsIterA=7 skipReadsIterA=1 readsPerIterA=4 */
/* dataAtIterB=0 numReadsIterB=3 skipReadsIterB=0 readsPerIterB=3 */


/* iter 7 (last unrolled loop) */

/*  grEndMfmaIndex:0, lwStartMfmaIndex:43, lwEndMfmaIndex:43  */
/*  numMfmaForLR:2, barrierMfmaIndex:45 */
/*  mfmaIndex:21  */
_ds_load_u8 v105, v[vgprLocalReadAddrA] offset:8320 // L -> Reg lro=8192 swapByteOffset=0 ti=128 vIdx=0 rIdx=1 oIdx=0 buffer=8 iui=0
_ds_load_u8_d16_hi v106, v[vgprLocalReadAddrA] offset:8448 // L -> Reg lro=8192 swapByteOffset=0 ti=128 vIdx=0 rIdx=2 oIdx=0 buffer=8 iui=0
_ds_load_u8_d16_hi v107, v[vgprLocalReadAddrA] offset:8576 // L -> Reg lro=8192 swapByteOffset=0 ti=128 vIdx=0 rIdx=3 oIdx=0 buffer=8 iui=0
/* localReadsVacancy: latencyLeft 7 */
s_waitcnt lgkmcnt(3)                               // lgkmcnt=0 vmcnt=-1wait for prior local read local write old=0, new=3 newLW=0 newLR=3
/* pack scheduling: packAIdx:3, packBIdx:0 */
_v_lshl_or_b32 v[vgprValuA_X7_I0+0], v108, 0x8, v[vgprValuA_X7_I0+0] // pack two int8 Vgpr to one half Vgpr
_v_lshl_or_b32 v109, v110, 0x8, v109               // pack two int8 Vgpr to one half Vgpr
v_or_b32 v[vgprValuA_X7_I0+0], v[vgprValuA_X7_I0+0], v109 // pack two half Vgpr to one Vgpr
s_nop  1                                           // VALU packing writes to be consumed by matrix instruction
v_mfma_i32_32x32x8i8 a[0+0:15+0], v[vgprValuA_X7_I0+0+0+0], v[vgprValuB_X4_I0+0+3+0], a[0:15]
/*  mfmaIndex:22  */
/* localReadsVacancy: latencyLeft 13 */
v_mfma_i32_32x32x8i8 a[16+0:31+0], v[vgprValuA_X7_I0+0+0+0], v[vgprValuB_X4_I0+4+3+0], a[16:31]
/*  mfmaIndex:23  */
/* localReadsVacancy: latencyLeft 13 */
v_mfma_i32_32x32x8i8 a[32+0:47+0], v[vgprValuA_X7_I0+0+0+0], v[vgprValuB_X4_I0+8+3+0], a[32:47]
/* numPrefetchIter=0 */
/* dataAtIterA=6 numReadsIterA=8 skipReadsIterA=1 readsPerIterA=4 */
/* dataAtIterB=0 numReadsIterB=3 skipReadsIterB=0 readsPerIterB=3 */


/* iter 8 (last unrolled loop) */

/*  grEndMfmaIndex:0, lwStartMfmaIndex:43, lwEndMfmaIndex:43  */
/*  numMfmaForLR:2, barrierMfmaIndex:45 */
/*  mfmaIndex:24  */
_ds_load_u8 v108, v[vgprLocalReadAddrA] offset:8832 // L -> Reg lro=8704 swapByteOffset=0 ti=128 vIdx=0 rIdx=1 oIdx=0 buffer=9 iui=0
_ds_load_u8_d16_hi v109, v[vgprLocalReadAddrA] offset:8960 // L -> Reg lro=8704 swapByteOffset=0 ti=128 vIdx=0 rIdx=2 oIdx=0 buffer=9 iui=0
_ds_load_u8_d16_hi v110, v[vgprLocalReadAddrA] offset:9088 // L -> Reg lro=8704 swapByteOffset=0 ti=128 vIdx=0 rIdx=3 oIdx=0 buffer=9 iui=0
/* localReadsVacancy: latencyLeft 7 */
s_waitcnt lgkmcnt(3)                               // lgkmcnt=0 vmcnt=-1wait for prior local read local write old=0, new=3 newLW=0 newLR=3
/* pack scheduling: packAIdx:3, packBIdx:0 */
_v_lshl_or_b32 v[vgprValuA_X8_I0+0], v105, 0x8, v[vgprValuA_X8_I0+0] // pack two int8 Vgpr to one half Vgpr
_v_lshl_or_b32 v106, v107, 0x8, v106               // pack two int8 Vgpr to one half Vgpr
v_or_b32 v[vgprValuA_X8_I0+0], v[vgprValuA_X8_I0+0], v106 // pack two half Vgpr to one Vgpr
s_nop  1                                           // VALU packing writes to be consumed by matrix instruction
v_mfma_i32_32x32x8i8 a[0+0:15+0], v[vgprValuA_X8_I0+0+0+0], v[vgprValuB_X8_I0+0+0+0], a[0:15]
/*  mfmaIndex:25  */
/* localReadsVacancy: latencyLeft 13 */
v_mfma_i32_32x32x8i8 a[16+0:31+0], v[vgprValuA_X8_I0+0+0+0], v[vgprValuB_X8_I0+4+0+0], a[16:31]
/*  mfmaIndex:26  */
/* localReadsVacancy: latencyLeft 13 */
v_mfma_i32_32x32x8i8 a[32+0:47+0], v[vgprValuA_X8_I0+0+0+0], v[vgprValuB_X8_I0+8+0+0], a[32:47]
/* numPrefetchIter=0 */
/* dataAtIterA=7 numReadsIterA=9 skipReadsIterA=1 readsPerIterA=4 */
/* dataAtIterB=1 numReadsIterB=3 skipReadsIterB=0 readsPerIterB=3 */


/* iter 9 (last unrolled loop) */

/*  grEndMfmaIndex:0, lwStartMfmaIndex:43, lwEndMfmaIndex:43  */
/*  numMfmaForLR:2, barrierMfmaIndex:45 */
/*  mfmaIndex:27  */
_ds_load_u8 v105, v[vgprLocalReadAddrA] offset:9344 // L -> Reg lro=9216 swapByteOffset=0 ti=128 vIdx=0 rIdx=1 oIdx=0 buffer=10 iui=0
_ds_load_u8_d16_hi v106, v[vgprLocalReadAddrA] offset:9472 // L -> Reg lro=9216 swapByteOffset=0 ti=128 vIdx=0 rIdx=2 oIdx=0 buffer=10 iui=0
_ds_load_u8_d16_hi v107, v[vgprLocalReadAddrA] offset:9600 // L -> Reg lro=9216 swapByteOffset=0 ti=128 vIdx=0 rIdx=3 oIdx=0 buffer=10 iui=0
/* localReadsVacancy: latencyLeft 7 */
s_waitcnt lgkmcnt(3)                               // lgkmcnt=0 vmcnt=-1wait for prior local read local write old=0, new=3 newLW=0 newLR=3
/* pack scheduling: packAIdx:3, packBIdx:0 */
_v_lshl_or_b32 v[vgprValuA_X9_I0+0], v108, 0x8, v[vgprValuA_X9_I0+0] // pack two int8 Vgpr to one half Vgpr
_v_lshl_or_b32 v109, v110, 0x8, v109               // pack two int8 Vgpr to one half Vgpr
v_or_b32 v[vgprValuA_X9_I0+0], v[vgprValuA_X9_I0+0], v109 // pack two half Vgpr to one Vgpr
s_nop  1                                           // VALU packing writes to be consumed by matrix instruction
v_mfma_i32_32x32x8i8 a[0+0:15+0], v[vgprValuA_X9_I0+0+0+0], v[vgprValuB_X8_I0+0+1+0], a[0:15]
/*  mfmaIndex:28  */
/* localReadsVacancy: latencyLeft 13 */
v_mfma_i32_32x32x8i8 a[16+0:31+0], v[vgprValuA_X9_I0+0+0+0], v[vgprValuB_X8_I0+4+1+0], a[16:31]
/*  mfmaIndex:29  */
/* localReadsVacancy: latencyLeft 13 */
v_mfma_i32_32x32x8i8 a[32+0:47+0], v[vgprValuA_X9_I0+0+0+0], v[vgprValuB_X8_I0+8+1+0], a[32:47]
/* numPrefetchIter=0 */
/* dataAtIterA=8 numReadsIterA=10 skipReadsIterA=1 readsPerIterA=4 */
/* dataAtIterB=1 numReadsIterB=3 skipReadsIterB=0 readsPerIterB=3 */


/* iter 10 (last unrolled loop) */

/*  grEndMfmaIndex:0, lwStartMfmaIndex:43, lwEndMfmaIndex:43  */
/*  numMfmaForLR:2, barrierMfmaIndex:45 */
/*  mfmaIndex:30  */
_ds_load_u8 v108, v[vgprLocalReadAddrA] offset:9856 // L -> Reg lro=9728 swapByteOffset=0 ti=128 vIdx=0 rIdx=1 oIdx=0 buffer=11 iui=0
_ds_load_u8_d16_hi v109, v[vgprLocalReadAddrA] offset:9984 // L -> Reg lro=9728 swapByteOffset=0 ti=128 vIdx=0 rIdx=2 oIdx=0 buffer=11 iui=0
_ds_load_u8_d16_hi v110, v[vgprLocalReadAddrA] offset:10112 // L -> Reg lro=9728 swapByteOffset=0 ti=128 vIdx=0 rIdx=3 oIdx=0 buffer=11 iui=0
/* localReadsVacancy: latencyLeft 7 */
s_waitcnt lgkmcnt(3)                               // lgkmcnt=0 vmcnt=-1wait for prior local read local write old=0, new=3 newLW=0 newLR=3
/* pack scheduling: packAIdx:3, packBIdx:0 */
_v_lshl_or_b32 v[vgprValuA_X10_I0+0], v105, 0x8, v[vgprValuA_X10_I0+0] // pack two int8 Vgpr to one half Vgpr
_v_lshl_or_b32 v106, v107, 0x8, v106               // pack two int8 Vgpr to one half Vgpr
v_or_b32 v[vgprValuA_X10_I0+0], v[vgprValuA_X10_I0+0], v106 // pack two half Vgpr to one Vgpr
s_nop  1                                           // VALU packing writes to be consumed by matrix instruction
v_mfma_i32_32x32x8i8 a[0+0:15+0], v[vgprValuA_X10_I0+0+0+0], v[vgprValuB_X8_I0+0+2+0], a[0:15]
/*  mfmaIndex:31  */
/* localReadsVacancy: latencyLeft 13 */
v_mfma_i32_32x32x8i8 a[16+0:31+0], v[vgprValuA_X10_I0+0+0+0], v[vgprValuB_X8_I0+4+2+0], a[16:31]
/*  mfmaIndex:32  */
/* localReadsVacancy: latencyLeft 13 */
v_mfma_i32_32x32x8i8 a[32+0:47+0], v[vgprValuA_X10_I0+0+0+0], v[vgprValuB_X8_I0+8+2+0], a[32:47]
/* numPrefetchIter=0 */
/* dataAtIterA=9 numReadsIterA=11 skipReadsIterA=1 readsPerIterA=4 */
/* dataAtIterB=1 numReadsIterB=3 skipReadsIterB=0 readsPerIterB=3 */


/* iter 11 (last unrolled loop) */

/*  grEndMfmaIndex:0, lwStartMfmaIndex:43, lwEndMfmaIndex:43  */
/*  numMfmaForLR:2, barrierMfmaIndex:45 */
/*  mfmaIndex:33  */
_ds_load_u8 v105, v[vgprLocalReadAddrA] offset:12416 // L -> Reg lro=12288 swapByteOffset=0 ti=128 vIdx=0 rIdx=1 oIdx=0 buffer=12 iui=0
_ds_load_u8_d16_hi v106, v[vgprLocalReadAddrA] offset:12544 // L -> Reg lro=12288 swapByteOffset=0 ti=128 vIdx=0 rIdx=2 oIdx=0 buffer=12 iui=0
_ds_load_u8_d16_hi v107, v[vgprLocalReadAddrA] offset:12672 // L -> Reg lro=12288 swapByteOffset=0 ti=128 vIdx=0 rIdx=3 oIdx=0 buffer=12 iui=0
/* localReadsVacancy: latencyLeft 7 */
s_waitcnt lgkmcnt(3)                               // lgkmcnt=0 vmcnt=-1wait for prior local read local write old=0, new=3 newLW=0 newLR=3
/* pack scheduling: packAIdx:3, packBIdx:0 */
_v_lshl_or_b32 v[vgprValuA_X11_I0+0], v108, 0x8, v[vgprValuA_X11_I0+0] // pack two int8 Vgpr to one half Vgpr
_v_lshl_or_b32 v109, v110, 0x8, v109               // pack two int8 Vgpr to one half Vgpr
v_or_b32 v[vgprValuA_X11_I0+0], v[vgprValuA_X11_I0+0], v109 // pack two half Vgpr to one Vgpr
s_nop  1                                           // VALU packing writes to be consumed by matrix instruction
v_mfma_i32_32x32x8i8 a[0+0:15+0], v[vgprValuA_X11_I0+0+0+0], v[vgprValuB_X8_I0+0+3+0], a[0:15]
/*  mfmaIndex:34  */
/* localReadsVacancy: latencyLeft 13 */
v_mfma_i32_32x32x8i8 a[16+0:31+0], v[vgprValuA_X11_I0+0+0+0], v[vgprValuB_X8_I0+4+3+0], a[16:31]
/*  mfmaIndex:35  */
/* localReadsVacancy: latencyLeft 13 */
v_mfma_i32_32x32x8i8 a[32+0:47+0], v[vgprValuA_X11_I0+0+0+0], v[vgprValuB_X8_I0+8+3+0], a[32:47]
/* numPrefetchIter=0 */
/* dataAtIterA=10 numReadsIterA=12 skipReadsIterA=1 readsPerIterA=4 */
/* dataAtIterB=1 numReadsIterB=3 skipReadsIterB=0 readsPerIterB=3 */


/* iter 12 (last unrolled loop) */

/*  grEndMfmaIndex:0, lwStartMfmaIndex:43, lwEndMfmaIndex:43  */
/*  numMfmaForLR:2, barrierMfmaIndex:45 */
/*  mfmaIndex:36  */
_ds_load_u8 v108, v[vgprLocalReadAddrA] offset:12928 // L -> Reg lro=12800 swapByteOffset=0 ti=128 vIdx=0 rIdx=1 oIdx=0 buffer=13 iui=0
_ds_load_u8_d16_hi v109, v[vgprLocalReadAddrA] offset:13056 // L -> Reg lro=12800 swapByteOffset=0 ti=128 vIdx=0 rIdx=2 oIdx=0 buffer=13 iui=0
_ds_load_u8_d16_hi v110, v[vgprLocalReadAddrA] offset:13184 // L -> Reg lro=12800 swapByteOffset=0 ti=128 vIdx=0 rIdx=3 oIdx=0 buffer=13 iui=0
/* localReadsVacancy: latencyLeft 7 */
s_waitcnt lgkmcnt(3)                               // lgkmcnt=0 vmcnt=-1wait for prior local read local write old=0, new=3 newLW=0 newLR=3
/* pack scheduling: packAIdx:3, packBIdx:0 */
_v_lshl_or_b32 v[vgprValuA_X12_I0+0], v105, 0x8, v[vgprValuA_X12_I0+0] // pack two int8 Vgpr to one half Vgpr
_v_lshl_or_b32 v106, v107, 0x8, v106               // pack two int8 Vgpr to one half Vgpr
v_or_b32 v[vgprValuA_X12_I0+0], v[vgprValuA_X12_I0+0], v106 // pack two half Vgpr to one Vgpr
s_nop  1                                           // VALU packing writes to be consumed by matrix instruction
v_mfma_i32_32x32x8i8 a[0+0:15+0], v[vgprValuA_X12_I0+0+0+0], v[vgprValuB_X12_I0+0+0+0], a[0:15]
/*  mfmaIndex:37  */
/* localReadsVacancy: latencyLeft 13 */
v_mfma_i32_32x32x8i8 a[16+0:31+0], v[vgprValuA_X12_I0+0+0+0], v[vgprValuB_X12_I0+4+0+0], a[16:31]
/*  mfmaIndex:38  */
/* localReadsVacancy: latencyLeft 13 */
v_mfma_i32_32x32x8i8 a[32+0:47+0], v[vgprValuA_X12_I0+0+0+0], v[vgprValuB_X12_I0+8+0+0], a[32:47]
/* numPrefetchIter=0 */
/* dataAtIterA=11 numReadsIterA=13 skipReadsIterA=1 readsPerIterA=4 */
/* dataAtIterB=2 numReadsIterB=3 skipReadsIterB=0 readsPerIterB=3 */


/* iter 13 (last unrolled loop) */

/*  grEndMfmaIndex:0, lwStartMfmaIndex:43, lwEndMfmaIndex:43  */
/*  numMfmaForLR:2, barrierMfmaIndex:45 */
/*  mfmaIndex:39  */
_ds_load_u8 v105, v[vgprLocalReadAddrA] offset:13440 // L -> Reg lro=13312 swapByteOffset=0 ti=128 vIdx=0 rIdx=1 oIdx=0 buffer=14 iui=0
_ds_load_u8_d16_hi v106, v[vgprLocalReadAddrA] offset:13568 // L -> Reg lro=13312 swapByteOffset=0 ti=128 vIdx=0 rIdx=2 oIdx=0 buffer=14 iui=0
_ds_load_u8_d16_hi v107, v[vgprLocalReadAddrA] offset:13696 // L -> Reg lro=13312 swapByteOffset=0 ti=128 vIdx=0 rIdx=3 oIdx=0 buffer=14 iui=0
/* localReadsVacancy: latencyLeft 7 */
s_waitcnt lgkmcnt(3)                               // lgkmcnt=0 vmcnt=-1wait for prior local read local write old=0, new=3 newLW=0 newLR=3
/* pack scheduling: packAIdx:3, packBIdx:0 */
_v_lshl_or_b32 v[vgprValuA_X13_I0+0], v108, 0x8, v[vgprValuA_X13_I0+0] // pack two int8 Vgpr to one half Vgpr
_v_lshl_or_b32 v109, v110, 0x8, v109               // pack two int8 Vgpr to one half Vgpr
v_or_b32 v[vgprValuA_X13_I0+0], v[vgprValuA_X13_I0+0], v109 // pack two half Vgpr to one Vgpr
s_nop  1                                           // VALU packing writes to be consumed by matrix instruction
v_mfma_i32_32x32x8i8 a[0+0:15+0], v[vgprValuA_X13_I0+0+0+0], v[vgprValuB_X12_I0+0+1+0], a[0:15]
/*  mfmaIndex:40  */
/* localReadsVacancy: latencyLeft 13 */
v_mfma_i32_32x32x8i8 a[16+0:31+0], v[vgprValuA_X13_I0+0+0+0], v[vgprValuB_X12_I0+4+1+0], a[16:31]
/*  mfmaIndex:41  */
/* localReadsVacancy: latencyLeft 13 */
v_mfma_i32_32x32x8i8 a[32+0:47+0], v[vgprValuA_X13_I0+0+0+0], v[vgprValuB_X12_I0+8+1+0], a[32:47]
/* numPrefetchIter=0 */
/* dataAtIterA=12 numReadsIterA=14 skipReadsIterA=1 readsPerIterA=4 */
/* dataAtIterB=2 numReadsIterB=3 skipReadsIterB=0 readsPerIterB=3 */


/* iter 14 (last unrolled loop) */

/*  grEndMfmaIndex:0, lwStartMfmaIndex:43, lwEndMfmaIndex:43  */
/*  numMfmaForLR:2, barrierMfmaIndex:45 */
/*  mfmaIndex:42  */
_ds_load_u8 v108, v[vgprLocalReadAddrA] offset:13952 // L -> Reg lro=13824 swapByteOffset=0 ti=128 vIdx=0 rIdx=1 oIdx=0 buffer=15 iui=0
_ds_load_u8_d16_hi v109, v[vgprLocalReadAddrA] offset:14080 // L -> Reg lro=13824 swapByteOffset=0 ti=128 vIdx=0 rIdx=2 oIdx=0 buffer=15 iui=0
_ds_load_u8_d16_hi v110, v[vgprLocalReadAddrA] offset:14208 // L -> Reg lro=13824 swapByteOffset=0 ti=128 vIdx=0 rIdx=3 oIdx=0 buffer=15 iui=0
/* localReadsVacancy: latencyLeft 7 */
s_waitcnt lgkmcnt(3)                               // lgkmcnt=0 vmcnt=-1wait for prior local read local write old=0, new=3 newLW=0 newLR=3
/* pack scheduling: packAIdx:3, packBIdx:0 */
_v_lshl_or_b32 v[vgprValuA_X14_I0+0], v105, 0x8, v[vgprValuA_X14_I0+0] // pack two int8 Vgpr to one half Vgpr
_v_lshl_or_b32 v106, v107, 0x8, v106               // pack two int8 Vgpr to one half Vgpr
v_or_b32 v[vgprValuA_X14_I0+0], v[vgprValuA_X14_I0+0], v106 // pack two half Vgpr to one Vgpr
s_nop  1                                           // VALU packing writes to be consumed by matrix instruction
v_mfma_i32_32x32x8i8 a[0+0:15+0], v[vgprValuA_X14_I0+0+0+0], v[vgprValuB_X12_I0+0+2+0], a[0:15]
/*  mfmaIndex:43  */
/* localReadsVacancy: latencyLeft 13 */
v_mfma_i32_32x32x8i8 a[16+0:31+0], v[vgprValuA_X14_I0+0+0+0], v[vgprValuB_X12_I0+4+2+0], a[16:31]
/*  mfmaIndex:44  */
/* localReadsVacancy: latencyLeft 13 */
v_mfma_i32_32x32x8i8 a[32+0:47+0], v[vgprValuA_X14_I0+0+0+0], v[vgprValuB_X12_I0+8+2+0], a[32:47]
/* numPrefetchIter=0 */
/* dataAtIterA=13 numReadsIterA=15 skipReadsIterA=1 readsPerIterA=4 */
/* dataAtIterB=2 numReadsIterB=3 skipReadsIterB=0 readsPerIterB=3 */


/* iter 15 (last unrolled loop) */

/*  grEndMfmaIndex:0, lwStartMfmaIndex:43, lwEndMfmaIndex:43  */
/*  numMfmaForLR:2, barrierMfmaIndex:45 */
/*  mfmaIndex:45  */
s_waitcnt lgkmcnt(0)                               // lgkmcnt=0 vmcnt=-1wait for prior local read local write old=0, new=0 newLW=0 newLR=0
/* pack scheduling: packAIdx:3, packBIdx:0 */
_v_lshl_or_b32 v[vgprValuA_X15_I0+0], v108, 0x8, v[vgprValuA_X15_I0+0] // pack two int8 Vgpr to one half Vgpr
_v_lshl_or_b32 v109, v110, 0x8, v109               // pack two int8 Vgpr to one half Vgpr
v_or_b32 v[vgprValuA_X15_I0+0], v[vgprValuA_X15_I0+0], v109 // pack two half Vgpr to one Vgpr
s_nop  1                                           // VALU packing writes to be consumed by matrix instruction
v_mfma_i32_32x32x8i8 a[0+0:15+0], v[vgprValuA_X15_I0+0+0+0], v[vgprValuB_X12_I0+0+3+0], a[0:15]
/*  mfmaIndex:46  */
v_mfma_i32_32x32x8i8 a[16+0:31+0], v[vgprValuA_X15_I0+0+0+0], v[vgprValuB_X12_I0+4+3+0], a[16:31]
/*  mfmaIndex:47  */
v_mfma_i32_32x32x8i8 a[32+0:47+0], v[vgprValuA_X15_I0+0+0+0], v[vgprValuB_X12_I0+8+3+0], a[32:47]
/* numPrefetchIter=0 */
/* dataAtIterA=14 numReadsIterA=15 skipReadsIterA=0 readsPerIterA=4 */
/* dataAtIterB=2 numReadsIterB=3 skipReadsIterB=0 readsPerIterB=3 */

PrefetchGlobalLastIterEnd_5:


/******************************************/
/* Tail Loop                              */
/******************************************/


/* local write reset offsets a */


v_and_b32 v[vgprLocalWriteAddrA], 0xf07fff, v[vgprLocalWriteAddrA] // reset to Red


/* local write reset offsets b */


v_and_b32 v[vgprLocalWriteAddrB], 0xf07fff, v[vgprLocalWriteAddrB] // reset to Red


//numIterL = (((sizeL % LOCAL_DEPTHU) + LOCAL_SPLITU - 1) / LOCAL_SPLITU)
s_and_b32 s[sgprLoopCounterL], 127, s[sgprSizesSum+0] // s[sgprLoopCounterL] = s[sgprSizesSum+0] % 128
s_cmp_eq_u32 s[sgprLoopCounterL], 0x0              // numIterL == 0
s_cbranch_scc1 SkipTailLoopL_8                     // skip to end of tail loop b/c numIter==0
s_mov_b32 s[sgprOrigLoopCounter], 0                // repurpose to count each localRead increment


/* Update M0 for DTLDS */


	;; [unrolled: 1-line block ×3, first 2 shown]
/* global read a */

/* g2l=0, load component 0 */
_buffer_load_b64 v[vgprG2LA+0+0:vgprG2LA+0+0+1], v[vgprGlobalReadOffsetA+0], s[sgprSrdA:sgprSrdA+3], 0, offen offset:0 // load packed 8X buffer value
/* g2l=0, load component 8 */
_buffer_load_b64 v[vgprG2LA+0+2:vgprG2LA+0+2+1], v[vgprGlobalReadOffsetA+0], s[sgprSrdA:sgprSrdA+3], 0, offen offset:8 // load packed 8X buffer value
	;; [unrolled: 2-line block ×8, first 2 shown]


/* Update M0 for DTLDS */


	;; [unrolled: 1-line block ×3, first 2 shown]
/* global read b */

/* g2l=0, load component 0 */
_buffer_load_d16_u8 v[vgprG2LB+0+0], v[vgprGlobalReadOffsetB+0], s[sgprSrdB:sgprSrdB+3], 0, offen offset:0 // load one buffer value
/* g2l=0, load component 1 */
_buffer_load_d16_u8 v105, v[vgprGlobalReadOffsetB+0], s[sgprSrdB:sgprSrdB+3], 0, offen offset:1 // load one buffer value
/* g2l=0, load component 2 */
_buffer_load_d16_hi_u8 v106, v[vgprGlobalReadOffsetB+0], s[sgprSrdB:sgprSrdB+3], 0, offen offset:2 // load one buffer value
/* g2l=0, load component 3 */
_buffer_load_d16_hi_u8 v107, v[vgprGlobalReadOffsetB+0], s[sgprSrdB:sgprSrdB+3], 0, offen offset:3 // load one buffer value
/* g2l=0, load component 4 */
_buffer_load_d16_u8 v[vgprG2LB+0+1], v[vgprGlobalReadOffsetB+0], s[sgprSrdB:sgprSrdB+3], 0, offen offset:4 // load one buffer value
/* g2l=0, load component 5 */
_buffer_load_d16_u8 v109, v[vgprGlobalReadOffsetB+0], s[sgprSrdB:sgprSrdB+3], 0, offen offset:5 // load one buffer value
/* g2l=0, load component 6 */
_buffer_load_d16_hi_u8 v110, v[vgprGlobalReadOffsetB+0], s[sgprSrdB:sgprSrdB+3], 0, offen offset:6 // load one buffer value
/* g2l=0, load component 7 */
_buffer_load_d16_hi_u8 v111, v[vgprGlobalReadOffsetB+0], s[sgprSrdB:sgprSrdB+3], 0, offen offset:7 // load one buffer value
/* g2l=0, load component 8 */
_buffer_load_d16_u8 v[vgprG2LB+0+2], v[vgprGlobalReadOffsetB+0], s[sgprSrdB:sgprSrdB+3], 0, offen offset:8 // load one buffer value
/* g2l=0, load component 9 */
_buffer_load_d16_u8 v113, v[vgprGlobalReadOffsetB+0], s[sgprSrdB:sgprSrdB+3], 0, offen offset:9 // load one buffer value
/* g2l=0, load component 10 */
_buffer_load_d16_hi_u8 v114, v[vgprGlobalReadOffsetB+0], s[sgprSrdB:sgprSrdB+3], 0, offen offset:10 // load one buffer value
/* g2l=0, load component 11 */
_buffer_load_d16_hi_u8 v115, v[vgprGlobalReadOffsetB+0], s[sgprSrdB:sgprSrdB+3], 0, offen offset:11 // load one buffer value
/* g2l=0, load component 12 */
_buffer_load_d16_u8 v[vgprG2LB+0+3], v[vgprGlobalReadOffsetB+0], s[sgprSrdB:sgprSrdB+3], 0, offen offset:12 // load one buffer value
/* g2l=0, load component 13 */
_buffer_load_d16_u8 v117, v[vgprGlobalReadOffsetB+0], s[sgprSrdB:sgprSrdB+3], 0, offen offset:13 // load one buffer value
/* g2l=0, load component 14 */
_buffer_load_d16_hi_u8 v118, v[vgprGlobalReadOffsetB+0], s[sgprSrdB:sgprSrdB+3], 0, offen offset:14 // load one buffer value
/* g2l=0, load component 15 */
_buffer_load_d16_hi_u8 v119, v[vgprGlobalReadOffsetB+0], s[sgprSrdB:sgprSrdB+3], 0, offen offset:15 // load one buffer value
s_waitcnt vmcnt(14)
v_lshlrev_b32 v105, 0x8, v105                      // shift left to higher 8 bits
v_or_b32 v[vgprG2LB+0+0], v[vgprG2LB+0+0], v105    // pack a sub 8-bit with dest
s_waitcnt vmcnt(13)
v_or_b32 v[vgprG2LB+0+0], v[vgprG2LB+0+0], v106    // pack a sub 8-bit with dest
s_waitcnt vmcnt(12)
v_lshlrev_b32 v107, 0x8, v107                      // shift left to higher 8 bits
v_or_b32 v[vgprG2LB+0+0], v[vgprG2LB+0+0], v107    // pack a sub 8-bit with dest
s_waitcnt vmcnt(10)
v_lshlrev_b32 v109, 0x8, v109                      // shift left to higher 8 bits
v_or_b32 v[vgprG2LB+0+1], v[vgprG2LB+0+1], v109    // pack a sub 8-bit with dest
s_waitcnt vmcnt(9)
v_or_b32 v[vgprG2LB+0+1], v[vgprG2LB+0+1], v110    // pack a sub 8-bit with dest
s_waitcnt vmcnt(8)
v_lshlrev_b32 v111, 0x8, v111                      // shift left to higher 8 bits
v_or_b32 v[vgprG2LB+0+1], v[vgprG2LB+0+1], v111    // pack a sub 8-bit with dest
s_waitcnt vmcnt(6)
v_lshlrev_b32 v113, 0x8, v113                      // shift left to higher 8 bits
v_or_b32 v[vgprG2LB+0+2], v[vgprG2LB+0+2], v113    // pack a sub 8-bit with dest
s_waitcnt vmcnt(5)
v_or_b32 v[vgprG2LB+0+2], v[vgprG2LB+0+2], v114    // pack a sub 8-bit with dest
s_waitcnt vmcnt(4)
v_lshlrev_b32 v115, 0x8, v115                      // shift left to higher 8 bits
v_or_b32 v[vgprG2LB+0+2], v[vgprG2LB+0+2], v115    // pack a sub 8-bit with dest
s_waitcnt vmcnt(2)
v_lshlrev_b32 v117, 0x8, v117                      // shift left to higher 8 bits
v_or_b32 v[vgprG2LB+0+3], v[vgprG2LB+0+3], v117    // pack a sub 8-bit with dest
s_waitcnt vmcnt(1)
v_or_b32 v[vgprG2LB+0+3], v[vgprG2LB+0+3], v118    // pack a sub 8-bit with dest
s_waitcnt vmcnt(0)
v_lshlrev_b32 v119, 0x8, v119                      // shift left to higher 8 bits
v_or_b32 v[vgprG2LB+0+3], v[vgprG2LB+0+3], v119    // pack a sub 8-bit with dest
/* g2l=4, load component 0 */
_buffer_load_d16_u8 v[vgprG2LB+4+0], v[vgprGlobalReadOffsetB+1], s[sgprSrdB:sgprSrdB+3], 0, offen offset:0 // load one buffer value
/* g2l=4, load component 1 */
_buffer_load_d16_u8 v105, v[vgprGlobalReadOffsetB+1], s[sgprSrdB:sgprSrdB+3], 0, offen offset:1 // load one buffer value
/* g2l=4, load component 2 */
_buffer_load_d16_hi_u8 v106, v[vgprGlobalReadOffsetB+1], s[sgprSrdB:sgprSrdB+3], 0, offen offset:2 // load one buffer value
/* g2l=4, load component 3 */
_buffer_load_d16_hi_u8 v107, v[vgprGlobalReadOffsetB+1], s[sgprSrdB:sgprSrdB+3], 0, offen offset:3 // load one buffer value
/* g2l=4, load component 4 */
_buffer_load_d16_u8 v[vgprG2LB+4+1], v[vgprGlobalReadOffsetB+1], s[sgprSrdB:sgprSrdB+3], 0, offen offset:4 // load one buffer value
/* g2l=4, load component 5 */
_buffer_load_d16_u8 v109, v[vgprGlobalReadOffsetB+1], s[sgprSrdB:sgprSrdB+3], 0, offen offset:5 // load one buffer value
/* g2l=4, load component 6 */
_buffer_load_d16_hi_u8 v110, v[vgprGlobalReadOffsetB+1], s[sgprSrdB:sgprSrdB+3], 0, offen offset:6 // load one buffer value
/* g2l=4, load component 7 */
_buffer_load_d16_hi_u8 v111, v[vgprGlobalReadOffsetB+1], s[sgprSrdB:sgprSrdB+3], 0, offen offset:7 // load one buffer value
/* g2l=4, load component 8 */
_buffer_load_d16_u8 v[vgprG2LB+4+2], v[vgprGlobalReadOffsetB+1], s[sgprSrdB:sgprSrdB+3], 0, offen offset:8 // load one buffer value
/* g2l=4, load component 9 */
_buffer_load_d16_u8 v113, v[vgprGlobalReadOffsetB+1], s[sgprSrdB:sgprSrdB+3], 0, offen offset:9 // load one buffer value
/* g2l=4, load component 10 */
_buffer_load_d16_hi_u8 v114, v[vgprGlobalReadOffsetB+1], s[sgprSrdB:sgprSrdB+3], 0, offen offset:10 // load one buffer value
/* g2l=4, load component 11 */
_buffer_load_d16_hi_u8 v115, v[vgprGlobalReadOffsetB+1], s[sgprSrdB:sgprSrdB+3], 0, offen offset:11 // load one buffer value
/* g2l=4, load component 12 */
_buffer_load_d16_u8 v[vgprG2LB+4+3], v[vgprGlobalReadOffsetB+1], s[sgprSrdB:sgprSrdB+3], 0, offen offset:12 // load one buffer value
/* g2l=4, load component 13 */
_buffer_load_d16_u8 v117, v[vgprGlobalReadOffsetB+1], s[sgprSrdB:sgprSrdB+3], 0, offen offset:13 // load one buffer value
/* g2l=4, load component 14 */
_buffer_load_d16_hi_u8 v118, v[vgprGlobalReadOffsetB+1], s[sgprSrdB:sgprSrdB+3], 0, offen offset:14 // load one buffer value
/* g2l=4, load component 15 */
_buffer_load_d16_hi_u8 v119, v[vgprGlobalReadOffsetB+1], s[sgprSrdB:sgprSrdB+3], 0, offen offset:15 // load one buffer value
s_waitcnt vmcnt(14)
v_lshlrev_b32 v105, 0x8, v105                      // shift left to higher 8 bits
v_or_b32 v[vgprG2LB+4+0], v[vgprG2LB+4+0], v105    // pack a sub 8-bit with dest
s_waitcnt vmcnt(13)
v_or_b32 v[vgprG2LB+4+0], v[vgprG2LB+4+0], v106    // pack a sub 8-bit with dest
s_waitcnt vmcnt(12)
v_lshlrev_b32 v107, 0x8, v107                      // shift left to higher 8 bits
v_or_b32 v[vgprG2LB+4+0], v[vgprG2LB+4+0], v107    // pack a sub 8-bit with dest
s_waitcnt vmcnt(10)
v_lshlrev_b32 v109, 0x8, v109                      // shift left to higher 8 bits
v_or_b32 v[vgprG2LB+4+1], v[vgprG2LB+4+1], v109    // pack a sub 8-bit with dest
s_waitcnt vmcnt(9)
v_or_b32 v[vgprG2LB+4+1], v[vgprG2LB+4+1], v110    // pack a sub 8-bit with dest
s_waitcnt vmcnt(8)
v_lshlrev_b32 v111, 0x8, v111                      // shift left to higher 8 bits
v_or_b32 v[vgprG2LB+4+1], v[vgprG2LB+4+1], v111    // pack a sub 8-bit with dest
s_waitcnt vmcnt(6)
v_lshlrev_b32 v113, 0x8, v113                      // shift left to higher 8 bits
v_or_b32 v[vgprG2LB+4+2], v[vgprG2LB+4+2], v113    // pack a sub 8-bit with dest
s_waitcnt vmcnt(5)
v_or_b32 v[vgprG2LB+4+2], v[vgprG2LB+4+2], v114    // pack a sub 8-bit with dest
s_waitcnt vmcnt(4)
v_lshlrev_b32 v115, 0x8, v115                      // shift left to higher 8 bits
v_or_b32 v[vgprG2LB+4+2], v[vgprG2LB+4+2], v115    // pack a sub 8-bit with dest
s_waitcnt vmcnt(2)
v_lshlrev_b32 v117, 0x8, v117                      // shift left to higher 8 bits
v_or_b32 v[vgprG2LB+4+3], v[vgprG2LB+4+3], v117    // pack a sub 8-bit with dest
s_waitcnt vmcnt(1)
v_or_b32 v[vgprG2LB+4+3], v[vgprG2LB+4+3], v118    // pack a sub 8-bit with dest
s_waitcnt vmcnt(0)
v_lshlrev_b32 v119, 0x8, v119                      // shift left to higher 8 bits
v_or_b32 v[vgprG2LB+4+3], v[vgprG2LB+4+3], v119    // pack a sub 8-bit with dest
	;; [unrolled: 64-line block ×3, first 2 shown]

s_waitcnt vmcnt(0)                                 // lgkmcnt=-1 vmcnt=02wait for global read

s_waitcnt lgkmcnt(0) & vmcnt(0)                    // force waitcnt0
s_barrier //


/* Done global A/B reads */


	;; [unrolled: 1-line block ×4, first 2 shown]
/* local write a */

_ds_store_b128 v[vgprLocalWriteAddrA], v[vgprG2LA+0:vgprG2LA+0+3] offset:0 // lwoA_0_0_0_0 = (0*LSCA) + (0*LSPA)(*MT0I+PAD) = 0
_ds_store_b128 v[vgprLocalWriteAddrA], v[vgprG2LA+4:vgprG2LA+4+3] offset:1024 // lwoA_0_0_1_0 = (0*LSCA) + (1*LSPA)(*MT0I+PAD) = 1024
_ds_store_b128 v[vgprLocalWriteAddrA], v[vgprG2LA+8:vgprG2LA+8+3] offset:2048 // lwoA_0_0_2_0 = (0*LSCA) + (2*LSPA)(*MT0I+PAD) = 2048
_ds_store_b128 v[vgprLocalWriteAddrA], v[vgprG2LA+12:vgprG2LA+12+3] offset:3072 // lwoA_0_0_3_0 = (0*LSCA) + (3*LSPA)(*MT0I+PAD) = 3072


/* local write b */

_ds_store_b128 v[vgprLocalWriteAddrB], v[vgprG2LB+0:vgprG2LB+0+3] offset:0 // lwoB_0_0_0_0 = (0*LSCB)*(MT1J+PAD) + (0*LSPB) = 0
_ds_store_b128 v[vgprLocalWriteAddrB], v[vgprG2LB+4:vgprG2LB+4+3] offset:1152 // lwoB_0_0_1_0 = (0*LSCB)*(MT1J+PAD) + (1*LSPB) = 1152
_ds_store_b128 v[vgprLocalWriteAddrB], v[vgprG2LB+8:vgprG2LB+8+3] offset:2304 // lwoB_0_0_2_0 = (0*LSCB)*(MT1J+PAD) + (2*LSPB) = 2304


/* Recalc local read offsets */

/*lr0I*/
v_and_b32 v106, 63, v[vgprSerial]                  // 0. thread id in wave: wtid = tid % wavelength(64)
v_and_b32 v105, 31, v106                           // 1. N offset: nIdx = wtid % MI_N(32)
                                                   // 1. N offset: nOffset = nIdx * nStride(1) (multiplier is 1, do nothing)
                                                   // 2. block offset: bnIdx = bnIdx % num1DBlocks(1) is 0. do nothing
                                                   // 4. apply VectorWidth: bnOffset = bnOffset * vw(1) (multiplier is 1, do nothing)
v_lshrrev_b32 v106, 5, v106                        // 5. K offset: kIdx = wtid / (MIN(32) * MIBB(1))
v_lshlrev_b32 v106, 0x9, v106                      // 5. K offset: lrKOffset = kIdx * mStride(512)
_v_add_u32 v105, v106, v105                        // 6. offset in wave: lrOffset = bnOffset + lrKOffset
v_lshrrev_b32 v107, 6, v[vgprSerial]               // 7. wave offset in N dimen: wtid = tid / dividedForWaveId(64)
v_and_b32 v106, 3, v107                            // 7. wave offset in M dimen: wtid0 = wtid / num1DWaves(4)
v_lshlrev_b32 v106, 0x5, v106                      // 7. wave offset in M dimen: wOffset = wtid0 * W0Stride(32)
_v_add_u32 v105, v106, v105                        // 8. final local read offset: flrOffset = lrOffset + WOffset
/*lr1J*/
v_and_b32 v107, 63, v[vgprSerial]                  // 0. thread id in wave: wtid = tid % wavelength(64)
v_and_b32 v106, 31, v107                           // 1. N offset: nIdx = wtid % MI_N(32)
v_lshlrev_b32 v106, 0x7, v106                      // 1. N offset: nOffset = nIdx * nStride(128)
                                                   // 2. block offset: bnIdx = bnIdx % num1DBlocks(1) is 0. do nothing
                                                   // 4. apply VectorWidth: bnOffset = bnOffset * vw(1) (multiplier is 1, do nothing)
v_lshrrev_b32 v107, 5, v107                        // 5. K offset: kIdx = wtid / (MIN(32) * MIBB(1))
v_lshlrev_b32 v107, 0x2, v107                      // 5. K offset: lrKOffset = kIdx * mStride(4)
_v_add_u32 v106, v107, v106                        // 6. offset in wave: lrOffset = bnOffset + lrKOffset
v_lshlrev_b32 v[vgprLocalReadAddrA], 0x0, v105     // Final Offset: offset = (lro0)*bpe
/* N/A */
v_lshlrev_b32 v[vgprLocalReadAddrB], 0x0, v106     // Final Offset: offset = (lro1)*bpe
v_lshrrev_b32 v105, 7, v[vgprLocalReadAddrB]       // Final Offset: padding 16 per block 128
v_lshlrev_b32 v105, 0x4, v105                      // Final Offset: padding 16 per block 128
_v_add_u32 v[vgprLocalReadAddrB], v105, v[vgprLocalReadAddrB] // Final Offset: add padding 16 per block 128
_v_add_co_u32 v[vgprLocalReadAddrB+0], vcc, 0x4000, v[vgprLocalReadAddrB+0] //  += LdsOffsetB (lower)

s_waitcnt lgkmcnt(0)                               // lgkmcnt=0 vmcnt=-15wait for local write

s_waitcnt lgkmcnt(0) & vmcnt(0)                    // force waitcnt0
s_barrier //


/* local read reset offsets a */


/* localReadResetOffsets */
/* handled internally */
v_and_b32 v[vgprLocalReadAddrA], 0x7fff, v[vgprLocalReadAddrA] // reset Red,Blk -> Red


/* local read reset offsets b */


/* localReadResetOffsets */
/* handled internally */
v_and_b32 v[vgprLocalReadAddrB], 0x7fff, v[vgprLocalReadAddrB] // reset Red,Blk -> Red


/* local read init pointers a */


/* localReadInitPointers */


/* local read init pointers b */


/* localReadInitPointers */


/* tail loop: macs */

TailLoopBeginL_6:


/* tail loop unroll iter 0 */


/* local read a */

_ds_load_u8 v[vgprValuA_X0_I0+0], v[vgprLocalReadAddrA] offset:0 // L -> Reg lro=0 swapByteOffset=0 ti=128 vIdx=0 rIdx=0 oIdx=0 buffer=0 iui=0
_ds_load_u8 v105, v[vgprLocalReadAddrA] offset:128 // L -> Reg lro=0 swapByteOffset=0 ti=128 vIdx=0 rIdx=1 oIdx=0 buffer=0 iui=0
_ds_load_u8_d16_hi v106, v[vgprLocalReadAddrA] offset:256 // L -> Reg lro=0 swapByteOffset=0 ti=128 vIdx=0 rIdx=2 oIdx=0 buffer=0 iui=0
_ds_load_u8_d16_hi v107, v[vgprLocalReadAddrA] offset:384 // L -> Reg lro=0 swapByteOffset=0 ti=128 vIdx=0 rIdx=3 oIdx=0 buffer=0 iui=0


/* local read b */

_ds_load_b32 v[vgprValuB_X0_I0+0], v[vgprLocalReadAddrB] offset:0 // L -> Reg lro=0 swapByteOffset=0 ti=32 vIdx=0 rIdx=0 oIdx=0 buffer=0 iui=0
_ds_load_b32 v[vgprValuB_X0_I0+1], v[vgprLocalReadAddrB] offset:4608 // L -> Reg lro=0 swapByteOffset=0 ti=32 vIdx=1 rIdx=0 oIdx=0 buffer=0 iui=0
	;; [unrolled: 1-line block ×3, first 2 shown]


/* local read inc a */

s_mov_b32 s33, 0x400                               // inc
_v_add_co_u32 v[vgprLocalReadAddrA], vcc, s33, v[vgprLocalReadAddrA] // lrA += 1024 (LSU*(MT+PAD)*bpe)


/* local read inc b */

s_mov_b32 s33, 0x8                                 // inc
_v_add_co_u32 v[vgprLocalReadAddrB], vcc, s33, v[vgprLocalReadAddrB] // lrB += 8 (LSU*bpe)

s_waitcnt lgkmcnt(0)                               // lgkmcnt=0 vmcnt=-14wait for local read

_v_lshl_or_b32 v[vgprValuA_X0_I0+0], v105, 0x8, v[vgprValuA_X0_I0+0] // pack two int8 Vgpr to one half Vgpr
_v_lshl_or_b32 v106, v107, 0x8, v106               // pack two int8 Vgpr to one half Vgpr
v_or_b32 v[vgprValuA_X0_I0+0], v[vgprValuA_X0_I0+0], v106 // pack two half Vgpr to one Vgpr


/* tail loop mfma iter 0: numReadsIterCoalescedA=1, numReadsIterCoalescedB=1 */
v_and_b32 v105, 63, v[vgprSerial]                  // v105 = v[vgprSerial] % 64
v_lshrrev_b32 v105, 5, v105                        // v105 = v105 / 32
v_lshlrev_b32 v105, 0x2, v105                      // v105 = v105 * 4
v_cmp_ge_i32 s[34:35], v105, s[sgprLoopCounterL]   // check K index >= Size L
v_cndmask_b32 v[vgprValuB_X0_I0+0+0+0+0], v[vgprValuB_X0_I0+0+0+0+0], 0x0, s[34:35] // set 0 if K_idx >= sizeL
v_cndmask_b32 v[vgprValuB_X0_I0+1+0+0+0], v[vgprValuB_X0_I0+1+0+0+0], 0x0, s[34:35] // set 0 if K_idx >= sizeL
	;; [unrolled: 1-line block ×3, first 2 shown]
_v_sub_u32 v105, s[sgprLoopCounterL], v105         // get distance between size and k index
v_cmp_lt_i32 s[34:35], v105, 4                     // set partial 0 if distance less than input per thread
s_and_b32 s36, s[sgprLoopCounterL], 3              // get inputs for edge thread
s_sub_u32 s36, 4, s36                              // use shift to fill 0 for outside element
s_lshl_b32 s36, s36, 3                             // use shift to fill 0 for outside element
v_mov_b32 v106, -1                                 // set 0xffffffff
v_lshrrev_b32 v106, s36, v106                      // rshift mask for partial k
v_cndmask_b32 v106, -1, v106, s[34:35]             // select shifted mask for partial k
v_and_b32 v[vgprValuB_X0_I0+0+0+0+0], v[vgprValuB_X0_I0+0+0+0+0], v106 // 
v_and_b32 v[vgprValuB_X0_I0+1+0+0+0], v[vgprValuB_X0_I0+1+0+0+0], v106 // 
	;; [unrolled: 1-line block ×3, first 2 shown]
s_nop 1
v_mfma_i32_32x32x8i8 a[0+0:15+0], v[vgprValuA_X0_I0+0+0+0], v[vgprValuB_X0_I0+0+0+0], a[0:15]
v_mfma_i32_32x32x8i8 a[16+0:31+0], v[vgprValuA_X0_I0+0+0+0], v[vgprValuB_X0_I0+1+0+0], a[16:31]
v_mfma_i32_32x32x8i8 a[32+0:47+0], v[vgprValuA_X0_I0+0+0+0], v[vgprValuB_X0_I0+2+0+0], a[32:47]


/* closeLoop loopL finalLoop=0 tailLoop=1 */
s_sub_i32 s[sgprLoopCounterL], s[sgprLoopCounterL], 0x8 // dec counterL (tailLoop)
s_add_u32 s[sgprOrigLoopCounter], s[sgprOrigLoopCounter], 0x8 // inc counterL
s_cmp_le_i32 s[sgprLoopCounterL], 0x0              // counterL<=0
s_cbranch_scc1 TailLoopEndL_7                      // exit LoopL


/* tail loop unroll iter 1 */


/* local read a */

_ds_load_u8 v[vgprValuA_X1_I0+0], v[vgprLocalReadAddrA] offset:0 // L -> Reg lro=0 swapByteOffset=0 ti=128 vIdx=0 rIdx=0 oIdx=0 buffer=1 iui=0
_ds_load_u8 v105, v[vgprLocalReadAddrA] offset:128 // L -> Reg lro=0 swapByteOffset=0 ti=128 vIdx=0 rIdx=1 oIdx=0 buffer=1 iui=0
_ds_load_u8_d16_hi v106, v[vgprLocalReadAddrA] offset:256 // L -> Reg lro=0 swapByteOffset=0 ti=128 vIdx=0 rIdx=2 oIdx=0 buffer=1 iui=0
_ds_load_u8_d16_hi v107, v[vgprLocalReadAddrA] offset:384 // L -> Reg lro=0 swapByteOffset=0 ti=128 vIdx=0 rIdx=3 oIdx=0 buffer=1 iui=0


/* local read b */

_ds_load_b32 v[vgprValuB_X1_I0+0], v[vgprLocalReadAddrB] offset:0 // L -> Reg lro=0 swapByteOffset=0 ti=32 vIdx=0 rIdx=0 oIdx=0 buffer=1 iui=0
_ds_load_b32 v[vgprValuB_X1_I0+1], v[vgprLocalReadAddrB] offset:4608 // L -> Reg lro=0 swapByteOffset=0 ti=32 vIdx=1 rIdx=0 oIdx=0 buffer=1 iui=0
	;; [unrolled: 1-line block ×3, first 2 shown]


/* local read inc a */

s_mov_b32 s33, 0x400                               // inc
_v_add_co_u32 v[vgprLocalReadAddrA], vcc, s33, v[vgprLocalReadAddrA] // lrA += 1024 (LSU*(MT+PAD)*bpe)


/* local read inc b */

s_mov_b32 s33, 0x8                                 // inc
_v_add_co_u32 v[vgprLocalReadAddrB], vcc, s33, v[vgprLocalReadAddrB] // lrB += 8 (LSU*bpe)

s_waitcnt lgkmcnt(0)                               // lgkmcnt=0 vmcnt=-14wait for local read

_v_lshl_or_b32 v[vgprValuA_X1_I0+0], v105, 0x8, v[vgprValuA_X1_I0+0] // pack two int8 Vgpr to one half Vgpr
_v_lshl_or_b32 v106, v107, 0x8, v106               // pack two int8 Vgpr to one half Vgpr
v_or_b32 v[vgprValuA_X1_I0+0], v[vgprValuA_X1_I0+0], v106 // pack two half Vgpr to one Vgpr


/* tail loop mfma iter 1: numReadsIterCoalescedA=1, numReadsIterCoalescedB=1 */
v_and_b32 v105, 63, v[vgprSerial]                  // v105 = v[vgprSerial] % 64
v_lshrrev_b32 v105, 5, v105                        // v105 = v105 / 32
v_lshlrev_b32 v105, 0x2, v105                      // v105 = v105 * 4
v_cmp_ge_i32 s[34:35], v105, s[sgprLoopCounterL]   // check K index >= Size L
v_cndmask_b32 v[vgprValuB_X1_I0+0+0+0+0], v[vgprValuB_X1_I0+0+0+0+0], 0x0, s[34:35] // set 0 if K_idx >= sizeL
v_cndmask_b32 v[vgprValuB_X1_I0+1+0+0+0], v[vgprValuB_X1_I0+1+0+0+0], 0x0, s[34:35] // set 0 if K_idx >= sizeL
	;; [unrolled: 1-line block ×3, first 2 shown]
_v_sub_u32 v105, s[sgprLoopCounterL], v105         // get distance between size and k index
v_cmp_lt_i32 s[34:35], v105, 4                     // set partial 0 if distance less than input per thread
s_and_b32 s36, s[sgprLoopCounterL], 3              // get inputs for edge thread
s_sub_u32 s36, 4, s36                              // use shift to fill 0 for outside element
s_lshl_b32 s36, s36, 3                             // use shift to fill 0 for outside element
v_mov_b32 v106, -1                                 // set 0xffffffff
v_lshrrev_b32 v106, s36, v106                      // rshift mask for partial k
v_cndmask_b32 v106, -1, v106, s[34:35]             // select shifted mask for partial k
v_and_b32 v[vgprValuB_X1_I0+0+0+0+0], v[vgprValuB_X1_I0+0+0+0+0], v106 // 
v_and_b32 v[vgprValuB_X1_I0+1+0+0+0], v[vgprValuB_X1_I0+1+0+0+0], v106 // 
	;; [unrolled: 1-line block ×3, first 2 shown]
s_nop 1
v_mfma_i32_32x32x8i8 a[0+0:15+0], v[vgprValuA_X1_I0+0+0+0], v[vgprValuB_X1_I0+0+0+0], a[0:15]
v_mfma_i32_32x32x8i8 a[16+0:31+0], v[vgprValuA_X1_I0+0+0+0], v[vgprValuB_X1_I0+1+0+0], a[16:31]
	;; [unrolled: 1-line block ×3, first 2 shown]


/* closeLoop loopL finalLoop=0 tailLoop=1 */
s_sub_i32 s[sgprLoopCounterL], s[sgprLoopCounterL], 0x8 // dec counterL (tailLoop)
s_add_u32 s[sgprOrigLoopCounter], s[sgprOrigLoopCounter], 0x8 // inc counterL
s_cmp_le_i32 s[sgprLoopCounterL], 0x0              // counterL<=0
s_cbranch_scc1 TailLoopEndL_7                      // exit LoopL


/* tail loop unroll iter 2 */


/* local read a */

_ds_load_u8 v[vgprValuA_X2_I0+0], v[vgprLocalReadAddrA] offset:0 // L -> Reg lro=0 swapByteOffset=0 ti=128 vIdx=0 rIdx=0 oIdx=0 buffer=2 iui=0
_ds_load_u8 v105, v[vgprLocalReadAddrA] offset:128 // L -> Reg lro=0 swapByteOffset=0 ti=128 vIdx=0 rIdx=1 oIdx=0 buffer=2 iui=0
_ds_load_u8_d16_hi v106, v[vgprLocalReadAddrA] offset:256 // L -> Reg lro=0 swapByteOffset=0 ti=128 vIdx=0 rIdx=2 oIdx=0 buffer=2 iui=0
_ds_load_u8_d16_hi v107, v[vgprLocalReadAddrA] offset:384 // L -> Reg lro=0 swapByteOffset=0 ti=128 vIdx=0 rIdx=3 oIdx=0 buffer=2 iui=0


/* local read b */

_ds_load_b32 v[vgprValuB_X2_I0+0], v[vgprLocalReadAddrB] offset:0 // L -> Reg lro=0 swapByteOffset=0 ti=32 vIdx=0 rIdx=0 oIdx=0 buffer=2 iui=0
_ds_load_b32 v[vgprValuB_X2_I0+1], v[vgprLocalReadAddrB] offset:4608 // L -> Reg lro=0 swapByteOffset=0 ti=32 vIdx=1 rIdx=0 oIdx=0 buffer=2 iui=0
	;; [unrolled: 1-line block ×3, first 2 shown]


/* local read inc a */

s_mov_b32 s33, 0x400                               // inc
_v_add_co_u32 v[vgprLocalReadAddrA], vcc, s33, v[vgprLocalReadAddrA] // lrA += 1024 (LSU*(MT+PAD)*bpe)


/* local read inc b */

s_mov_b32 s33, 0x8                                 // inc
_v_add_co_u32 v[vgprLocalReadAddrB], vcc, s33, v[vgprLocalReadAddrB] // lrB += 8 (LSU*bpe)

s_waitcnt lgkmcnt(0)                               // lgkmcnt=0 vmcnt=-14wait for local read

_v_lshl_or_b32 v[vgprValuA_X2_I0+0], v105, 0x8, v[vgprValuA_X2_I0+0] // pack two int8 Vgpr to one half Vgpr
_v_lshl_or_b32 v106, v107, 0x8, v106               // pack two int8 Vgpr to one half Vgpr
v_or_b32 v[vgprValuA_X2_I0+0], v[vgprValuA_X2_I0+0], v106 // pack two half Vgpr to one Vgpr


/* tail loop mfma iter 2: numReadsIterCoalescedA=1, numReadsIterCoalescedB=1 */
v_and_b32 v105, 63, v[vgprSerial]                  // v105 = v[vgprSerial] % 64
v_lshrrev_b32 v105, 5, v105                        // v105 = v105 / 32
v_lshlrev_b32 v105, 0x2, v105                      // v105 = v105 * 4
v_cmp_ge_i32 s[34:35], v105, s[sgprLoopCounterL]   // check K index >= Size L
v_cndmask_b32 v[vgprValuB_X2_I0+0+0+0+0], v[vgprValuB_X2_I0+0+0+0+0], 0x0, s[34:35] // set 0 if K_idx >= sizeL
v_cndmask_b32 v[vgprValuB_X2_I0+1+0+0+0], v[vgprValuB_X2_I0+1+0+0+0], 0x0, s[34:35] // set 0 if K_idx >= sizeL
v_cndmask_b32 v[vgprValuB_X2_I0+2+0+0+0], v[vgprValuB_X2_I0+2+0+0+0], 0x0, s[34:35] // set 0 if K_idx >= sizeL
_v_sub_u32 v105, s[sgprLoopCounterL], v105         // get distance between size and k index
v_cmp_lt_i32 s[34:35], v105, 4                     // set partial 0 if distance less than input per thread
s_and_b32 s36, s[sgprLoopCounterL], 3              // get inputs for edge thread
s_sub_u32 s36, 4, s36                              // use shift to fill 0 for outside element
s_lshl_b32 s36, s36, 3                             // use shift to fill 0 for outside element
v_mov_b32 v106, -1                                 // set 0xffffffff
v_lshrrev_b32 v106, s36, v106                      // rshift mask for partial k
v_cndmask_b32 v106, -1, v106, s[34:35]             // select shifted mask for partial k
v_and_b32 v[vgprValuB_X2_I0+0+0+0+0], v[vgprValuB_X2_I0+0+0+0+0], v106 // 
v_and_b32 v[vgprValuB_X2_I0+1+0+0+0], v[vgprValuB_X2_I0+1+0+0+0], v106 // 
	;; [unrolled: 1-line block ×3, first 2 shown]
s_nop 1
v_mfma_i32_32x32x8i8 a[0+0:15+0], v[vgprValuA_X2_I0+0+0+0], v[vgprValuB_X2_I0+0+0+0], a[0:15]
v_mfma_i32_32x32x8i8 a[16+0:31+0], v[vgprValuA_X2_I0+0+0+0], v[vgprValuB_X2_I0+1+0+0], a[16:31]
	;; [unrolled: 1-line block ×3, first 2 shown]


/* closeLoop loopL finalLoop=0 tailLoop=1 */
s_sub_i32 s[sgprLoopCounterL], s[sgprLoopCounterL], 0x8 // dec counterL (tailLoop)
s_add_u32 s[sgprOrigLoopCounter], s[sgprOrigLoopCounter], 0x8 // inc counterL
s_cmp_le_i32 s[sgprLoopCounterL], 0x0              // counterL<=0
s_cbranch_scc1 TailLoopEndL_7                      // exit LoopL


/* tail loop unroll iter 3 */


/* local read a */

_ds_load_u8 v[vgprValuA_X3_I0+0], v[vgprLocalReadAddrA] offset:0 // L -> Reg lro=0 swapByteOffset=0 ti=128 vIdx=0 rIdx=0 oIdx=0 buffer=3 iui=0
_ds_load_u8 v105, v[vgprLocalReadAddrA] offset:128 // L -> Reg lro=0 swapByteOffset=0 ti=128 vIdx=0 rIdx=1 oIdx=0 buffer=3 iui=0
_ds_load_u8_d16_hi v106, v[vgprLocalReadAddrA] offset:256 // L -> Reg lro=0 swapByteOffset=0 ti=128 vIdx=0 rIdx=2 oIdx=0 buffer=3 iui=0
_ds_load_u8_d16_hi v107, v[vgprLocalReadAddrA] offset:384 // L -> Reg lro=0 swapByteOffset=0 ti=128 vIdx=0 rIdx=3 oIdx=0 buffer=3 iui=0


/* local read b */

_ds_load_b32 v[vgprValuB_X3_I0+0], v[vgprLocalReadAddrB] offset:0 // L -> Reg lro=0 swapByteOffset=0 ti=32 vIdx=0 rIdx=0 oIdx=0 buffer=3 iui=0
_ds_load_b32 v[vgprValuB_X3_I0+1], v[vgprLocalReadAddrB] offset:4608 // L -> Reg lro=0 swapByteOffset=0 ti=32 vIdx=1 rIdx=0 oIdx=0 buffer=3 iui=0
	;; [unrolled: 1-line block ×3, first 2 shown]


/* local read inc a */

s_mov_b32 s33, 0x400                               // inc
_v_add_co_u32 v[vgprLocalReadAddrA], vcc, s33, v[vgprLocalReadAddrA] // lrA += 1024 (LSU*(MT+PAD)*bpe)


/* local read inc b */

s_mov_b32 s33, 0x8                                 // inc
_v_add_co_u32 v[vgprLocalReadAddrB], vcc, s33, v[vgprLocalReadAddrB] // lrB += 8 (LSU*bpe)

s_waitcnt lgkmcnt(0)                               // lgkmcnt=0 vmcnt=-14wait for local read

_v_lshl_or_b32 v[vgprValuA_X3_I0+0], v105, 0x8, v[vgprValuA_X3_I0+0] // pack two int8 Vgpr to one half Vgpr
_v_lshl_or_b32 v106, v107, 0x8, v106               // pack two int8 Vgpr to one half Vgpr
v_or_b32 v[vgprValuA_X3_I0+0], v[vgprValuA_X3_I0+0], v106 // pack two half Vgpr to one Vgpr


/* tail loop mfma iter 3: numReadsIterCoalescedA=1, numReadsIterCoalescedB=1 */
v_and_b32 v105, 63, v[vgprSerial]                  // v105 = v[vgprSerial] % 64
v_lshrrev_b32 v105, 5, v105                        // v105 = v105 / 32
v_lshlrev_b32 v105, 0x2, v105                      // v105 = v105 * 4
v_cmp_ge_i32 s[34:35], v105, s[sgprLoopCounterL]   // check K index >= Size L
v_cndmask_b32 v[vgprValuB_X3_I0+0+0+0+0], v[vgprValuB_X3_I0+0+0+0+0], 0x0, s[34:35] // set 0 if K_idx >= sizeL
v_cndmask_b32 v[vgprValuB_X3_I0+1+0+0+0], v[vgprValuB_X3_I0+1+0+0+0], 0x0, s[34:35] // set 0 if K_idx >= sizeL
	;; [unrolled: 1-line block ×3, first 2 shown]
_v_sub_u32 v105, s[sgprLoopCounterL], v105         // get distance between size and k index
v_cmp_lt_i32 s[34:35], v105, 4                     // set partial 0 if distance less than input per thread
s_and_b32 s36, s[sgprLoopCounterL], 3              // get inputs for edge thread
s_sub_u32 s36, 4, s36                              // use shift to fill 0 for outside element
s_lshl_b32 s36, s36, 3                             // use shift to fill 0 for outside element
v_mov_b32 v106, -1                                 // set 0xffffffff
v_lshrrev_b32 v106, s36, v106                      // rshift mask for partial k
v_cndmask_b32 v106, -1, v106, s[34:35]             // select shifted mask for partial k
v_and_b32 v[vgprValuB_X3_I0+0+0+0+0], v[vgprValuB_X3_I0+0+0+0+0], v106 // 
v_and_b32 v[vgprValuB_X3_I0+1+0+0+0], v[vgprValuB_X3_I0+1+0+0+0], v106 // 
	;; [unrolled: 1-line block ×3, first 2 shown]
s_nop 1
v_mfma_i32_32x32x8i8 a[0+0:15+0], v[vgprValuA_X3_I0+0+0+0], v[vgprValuB_X3_I0+0+0+0], a[0:15]
v_mfma_i32_32x32x8i8 a[16+0:31+0], v[vgprValuA_X3_I0+0+0+0], v[vgprValuB_X3_I0+1+0+0], a[16:31]
	;; [unrolled: 1-line block ×3, first 2 shown]


/* closeLoop loopL finalLoop=0 tailLoop=1 */
s_sub_i32 s[sgprLoopCounterL], s[sgprLoopCounterL], 0x8 // dec counterL (tailLoop)
s_add_u32 s[sgprOrigLoopCounter], s[sgprOrigLoopCounter], 0x8 // inc counterL
s_cmp_le_i32 s[sgprLoopCounterL], 0x0              // counterL<=0
s_cbranch_scc1 TailLoopEndL_7                      // exit LoopL


/* tail loop unroll iter 4 */


/* local read a */

_ds_load_u8 v[vgprValuA_X4_I0+0], v[vgprLocalReadAddrA] offset:0 // L -> Reg lro=0 swapByteOffset=0 ti=128 vIdx=0 rIdx=0 oIdx=0 buffer=4 iui=0
_ds_load_u8 v105, v[vgprLocalReadAddrA] offset:128 // L -> Reg lro=0 swapByteOffset=0 ti=128 vIdx=0 rIdx=1 oIdx=0 buffer=4 iui=0
_ds_load_u8_d16_hi v106, v[vgprLocalReadAddrA] offset:256 // L -> Reg lro=0 swapByteOffset=0 ti=128 vIdx=0 rIdx=2 oIdx=0 buffer=4 iui=0
_ds_load_u8_d16_hi v107, v[vgprLocalReadAddrA] offset:384 // L -> Reg lro=0 swapByteOffset=0 ti=128 vIdx=0 rIdx=3 oIdx=0 buffer=4 iui=0


/* local read b */

_ds_load_b32 v[vgprValuB_X4_I0+0], v[vgprLocalReadAddrB] offset:0 // L -> Reg lro=0 swapByteOffset=0 ti=32 vIdx=0 rIdx=0 oIdx=0 buffer=4 iui=0
_ds_load_b32 v[vgprValuB_X4_I0+1], v[vgprLocalReadAddrB] offset:4608 // L -> Reg lro=0 swapByteOffset=0 ti=32 vIdx=1 rIdx=0 oIdx=0 buffer=4 iui=0
	;; [unrolled: 1-line block ×3, first 2 shown]


/* local read inc a */

s_mov_b32 s33, 0x400                               // inc
_v_add_co_u32 v[vgprLocalReadAddrA], vcc, s33, v[vgprLocalReadAddrA] // lrA += 1024 (LSU*(MT+PAD)*bpe)


/* local read inc b */

s_mov_b32 s33, 0x8                                 // inc
_v_add_co_u32 v[vgprLocalReadAddrB], vcc, s33, v[vgprLocalReadAddrB] // lrB += 8 (LSU*bpe)

s_waitcnt lgkmcnt(0)                               // lgkmcnt=0 vmcnt=-14wait for local read

_v_lshl_or_b32 v[vgprValuA_X4_I0+0], v105, 0x8, v[vgprValuA_X4_I0+0] // pack two int8 Vgpr to one half Vgpr
_v_lshl_or_b32 v106, v107, 0x8, v106               // pack two int8 Vgpr to one half Vgpr
v_or_b32 v[vgprValuA_X4_I0+0], v[vgprValuA_X4_I0+0], v106 // pack two half Vgpr to one Vgpr


/* tail loop mfma iter 4: numReadsIterCoalescedA=1, numReadsIterCoalescedB=1 */
v_and_b32 v105, 63, v[vgprSerial]                  // v105 = v[vgprSerial] % 64
v_lshrrev_b32 v105, 5, v105                        // v105 = v105 / 32
v_lshlrev_b32 v105, 0x2, v105                      // v105 = v105 * 4
v_cmp_ge_i32 s[34:35], v105, s[sgprLoopCounterL]   // check K index >= Size L
v_cndmask_b32 v[vgprValuB_X4_I0+0+0+0+0], v[vgprValuB_X4_I0+0+0+0+0], 0x0, s[34:35] // set 0 if K_idx >= sizeL
v_cndmask_b32 v[vgprValuB_X4_I0+1+0+0+0], v[vgprValuB_X4_I0+1+0+0+0], 0x0, s[34:35] // set 0 if K_idx >= sizeL
	;; [unrolled: 1-line block ×3, first 2 shown]
_v_sub_u32 v105, s[sgprLoopCounterL], v105         // get distance between size and k index
v_cmp_lt_i32 s[34:35], v105, 4                     // set partial 0 if distance less than input per thread
s_and_b32 s36, s[sgprLoopCounterL], 3              // get inputs for edge thread
s_sub_u32 s36, 4, s36                              // use shift to fill 0 for outside element
s_lshl_b32 s36, s36, 3                             // use shift to fill 0 for outside element
v_mov_b32 v106, -1                                 // set 0xffffffff
v_lshrrev_b32 v106, s36, v106                      // rshift mask for partial k
v_cndmask_b32 v106, -1, v106, s[34:35]             // select shifted mask for partial k
v_and_b32 v[vgprValuB_X4_I0+0+0+0+0], v[vgprValuB_X4_I0+0+0+0+0], v106 // 
v_and_b32 v[vgprValuB_X4_I0+1+0+0+0], v[vgprValuB_X4_I0+1+0+0+0], v106 // 
	;; [unrolled: 1-line block ×3, first 2 shown]
s_nop 1
v_mfma_i32_32x32x8i8 a[0+0:15+0], v[vgprValuA_X4_I0+0+0+0], v[vgprValuB_X4_I0+0+0+0], a[0:15]
v_mfma_i32_32x32x8i8 a[16+0:31+0], v[vgprValuA_X4_I0+0+0+0], v[vgprValuB_X4_I0+1+0+0], a[16:31]
v_mfma_i32_32x32x8i8 a[32+0:47+0], v[vgprValuA_X4_I0+0+0+0], v[vgprValuB_X4_I0+2+0+0], a[32:47]


/* closeLoop loopL finalLoop=0 tailLoop=1 */
s_sub_i32 s[sgprLoopCounterL], s[sgprLoopCounterL], 0x8 // dec counterL (tailLoop)
s_add_u32 s[sgprOrigLoopCounter], s[sgprOrigLoopCounter], 0x8 // inc counterL
s_cmp_le_i32 s[sgprLoopCounterL], 0x0              // counterL<=0
s_cbranch_scc1 TailLoopEndL_7                      // exit LoopL


/* tail loop unroll iter 5 */


/* local read a */

_ds_load_u8 v[vgprValuA_X5_I0+0], v[vgprLocalReadAddrA] offset:0 // L -> Reg lro=0 swapByteOffset=0 ti=128 vIdx=0 rIdx=0 oIdx=0 buffer=5 iui=0
_ds_load_u8 v105, v[vgprLocalReadAddrA] offset:128 // L -> Reg lro=0 swapByteOffset=0 ti=128 vIdx=0 rIdx=1 oIdx=0 buffer=5 iui=0
_ds_load_u8_d16_hi v106, v[vgprLocalReadAddrA] offset:256 // L -> Reg lro=0 swapByteOffset=0 ti=128 vIdx=0 rIdx=2 oIdx=0 buffer=5 iui=0
_ds_load_u8_d16_hi v107, v[vgprLocalReadAddrA] offset:384 // L -> Reg lro=0 swapByteOffset=0 ti=128 vIdx=0 rIdx=3 oIdx=0 buffer=5 iui=0


/* local read b */

_ds_load_b32 v[vgprValuB_X5_I0+0], v[vgprLocalReadAddrB] offset:0 // L -> Reg lro=0 swapByteOffset=0 ti=32 vIdx=0 rIdx=0 oIdx=0 buffer=5 iui=0
_ds_load_b32 v[vgprValuB_X5_I0+1], v[vgprLocalReadAddrB] offset:4608 // L -> Reg lro=0 swapByteOffset=0 ti=32 vIdx=1 rIdx=0 oIdx=0 buffer=5 iui=0
	;; [unrolled: 1-line block ×3, first 2 shown]


/* local read inc a */

s_mov_b32 s33, 0x400                               // inc
_v_add_co_u32 v[vgprLocalReadAddrA], vcc, s33, v[vgprLocalReadAddrA] // lrA += 1024 (LSU*(MT+PAD)*bpe)


/* local read inc b */

s_mov_b32 s33, 0x8                                 // inc
_v_add_co_u32 v[vgprLocalReadAddrB], vcc, s33, v[vgprLocalReadAddrB] // lrB += 8 (LSU*bpe)

s_waitcnt lgkmcnt(0)                               // lgkmcnt=0 vmcnt=-14wait for local read

_v_lshl_or_b32 v[vgprValuA_X5_I0+0], v105, 0x8, v[vgprValuA_X5_I0+0] // pack two int8 Vgpr to one half Vgpr
_v_lshl_or_b32 v106, v107, 0x8, v106               // pack two int8 Vgpr to one half Vgpr
v_or_b32 v[vgprValuA_X5_I0+0], v[vgprValuA_X5_I0+0], v106 // pack two half Vgpr to one Vgpr


/* tail loop mfma iter 5: numReadsIterCoalescedA=1, numReadsIterCoalescedB=1 */
v_and_b32 v105, 63, v[vgprSerial]                  // v105 = v[vgprSerial] % 64
v_lshrrev_b32 v105, 5, v105                        // v105 = v105 / 32
v_lshlrev_b32 v105, 0x2, v105                      // v105 = v105 * 4
v_cmp_ge_i32 s[34:35], v105, s[sgprLoopCounterL]   // check K index >= Size L
v_cndmask_b32 v[vgprValuB_X5_I0+0+0+0+0], v[vgprValuB_X5_I0+0+0+0+0], 0x0, s[34:35] // set 0 if K_idx >= sizeL
v_cndmask_b32 v[vgprValuB_X5_I0+1+0+0+0], v[vgprValuB_X5_I0+1+0+0+0], 0x0, s[34:35] // set 0 if K_idx >= sizeL
	;; [unrolled: 1-line block ×3, first 2 shown]
_v_sub_u32 v105, s[sgprLoopCounterL], v105         // get distance between size and k index
v_cmp_lt_i32 s[34:35], v105, 4                     // set partial 0 if distance less than input per thread
s_and_b32 s36, s[sgprLoopCounterL], 3              // get inputs for edge thread
s_sub_u32 s36, 4, s36                              // use shift to fill 0 for outside element
s_lshl_b32 s36, s36, 3                             // use shift to fill 0 for outside element
v_mov_b32 v106, -1                                 // set 0xffffffff
v_lshrrev_b32 v106, s36, v106                      // rshift mask for partial k
v_cndmask_b32 v106, -1, v106, s[34:35]             // select shifted mask for partial k
v_and_b32 v[vgprValuB_X5_I0+0+0+0+0], v[vgprValuB_X5_I0+0+0+0+0], v106 // 
v_and_b32 v[vgprValuB_X5_I0+1+0+0+0], v[vgprValuB_X5_I0+1+0+0+0], v106 // 
	;; [unrolled: 1-line block ×3, first 2 shown]
s_nop 1
v_mfma_i32_32x32x8i8 a[0+0:15+0], v[vgprValuA_X5_I0+0+0+0], v[vgprValuB_X5_I0+0+0+0], a[0:15]
v_mfma_i32_32x32x8i8 a[16+0:31+0], v[vgprValuA_X5_I0+0+0+0], v[vgprValuB_X5_I0+1+0+0], a[16:31]
	;; [unrolled: 1-line block ×3, first 2 shown]


/* closeLoop loopL finalLoop=0 tailLoop=1 */
s_sub_i32 s[sgprLoopCounterL], s[sgprLoopCounterL], 0x8 // dec counterL (tailLoop)
s_add_u32 s[sgprOrigLoopCounter], s[sgprOrigLoopCounter], 0x8 // inc counterL
s_cmp_le_i32 s[sgprLoopCounterL], 0x0              // counterL<=0
s_cbranch_scc1 TailLoopEndL_7                      // exit LoopL


/* tail loop unroll iter 6 */


/* local read a */

_ds_load_u8 v[vgprValuA_X6_I0+0], v[vgprLocalReadAddrA] offset:0 // L -> Reg lro=0 swapByteOffset=0 ti=128 vIdx=0 rIdx=0 oIdx=0 buffer=6 iui=0
_ds_load_u8 v105, v[vgprLocalReadAddrA] offset:128 // L -> Reg lro=0 swapByteOffset=0 ti=128 vIdx=0 rIdx=1 oIdx=0 buffer=6 iui=0
_ds_load_u8_d16_hi v106, v[vgprLocalReadAddrA] offset:256 // L -> Reg lro=0 swapByteOffset=0 ti=128 vIdx=0 rIdx=2 oIdx=0 buffer=6 iui=0
_ds_load_u8_d16_hi v107, v[vgprLocalReadAddrA] offset:384 // L -> Reg lro=0 swapByteOffset=0 ti=128 vIdx=0 rIdx=3 oIdx=0 buffer=6 iui=0


/* local read b */

_ds_load_b32 v[vgprValuB_X6_I0+0], v[vgprLocalReadAddrB] offset:0 // L -> Reg lro=0 swapByteOffset=0 ti=32 vIdx=0 rIdx=0 oIdx=0 buffer=6 iui=0
_ds_load_b32 v[vgprValuB_X6_I0+1], v[vgprLocalReadAddrB] offset:4608 // L -> Reg lro=0 swapByteOffset=0 ti=32 vIdx=1 rIdx=0 oIdx=0 buffer=6 iui=0
	;; [unrolled: 1-line block ×3, first 2 shown]


/* local read inc a */

s_mov_b32 s33, 0x400                               // inc
_v_add_co_u32 v[vgprLocalReadAddrA], vcc, s33, v[vgprLocalReadAddrA] // lrA += 1024 (LSU*(MT+PAD)*bpe)


/* local read inc b */

s_mov_b32 s33, 0x8                                 // inc
_v_add_co_u32 v[vgprLocalReadAddrB], vcc, s33, v[vgprLocalReadAddrB] // lrB += 8 (LSU*bpe)

s_waitcnt lgkmcnt(0)                               // lgkmcnt=0 vmcnt=-14wait for local read

_v_lshl_or_b32 v[vgprValuA_X6_I0+0], v105, 0x8, v[vgprValuA_X6_I0+0] // pack two int8 Vgpr to one half Vgpr
_v_lshl_or_b32 v106, v107, 0x8, v106               // pack two int8 Vgpr to one half Vgpr
v_or_b32 v[vgprValuA_X6_I0+0], v[vgprValuA_X6_I0+0], v106 // pack two half Vgpr to one Vgpr


/* tail loop mfma iter 6: numReadsIterCoalescedA=1, numReadsIterCoalescedB=1 */
v_and_b32 v105, 63, v[vgprSerial]                  // v105 = v[vgprSerial] % 64
v_lshrrev_b32 v105, 5, v105                        // v105 = v105 / 32
v_lshlrev_b32 v105, 0x2, v105                      // v105 = v105 * 4
v_cmp_ge_i32 s[34:35], v105, s[sgprLoopCounterL]   // check K index >= Size L
v_cndmask_b32 v[vgprValuB_X6_I0+0+0+0+0], v[vgprValuB_X6_I0+0+0+0+0], 0x0, s[34:35] // set 0 if K_idx >= sizeL
v_cndmask_b32 v[vgprValuB_X6_I0+1+0+0+0], v[vgprValuB_X6_I0+1+0+0+0], 0x0, s[34:35] // set 0 if K_idx >= sizeL
	;; [unrolled: 1-line block ×3, first 2 shown]
_v_sub_u32 v105, s[sgprLoopCounterL], v105         // get distance between size and k index
v_cmp_lt_i32 s[34:35], v105, 4                     // set partial 0 if distance less than input per thread
s_and_b32 s36, s[sgprLoopCounterL], 3              // get inputs for edge thread
s_sub_u32 s36, 4, s36                              // use shift to fill 0 for outside element
s_lshl_b32 s36, s36, 3                             // use shift to fill 0 for outside element
v_mov_b32 v106, -1                                 // set 0xffffffff
v_lshrrev_b32 v106, s36, v106                      // rshift mask for partial k
v_cndmask_b32 v106, -1, v106, s[34:35]             // select shifted mask for partial k
v_and_b32 v[vgprValuB_X6_I0+0+0+0+0], v[vgprValuB_X6_I0+0+0+0+0], v106 // 
v_and_b32 v[vgprValuB_X6_I0+1+0+0+0], v[vgprValuB_X6_I0+1+0+0+0], v106 // 
	;; [unrolled: 1-line block ×3, first 2 shown]
s_nop 1
v_mfma_i32_32x32x8i8 a[0+0:15+0], v[vgprValuA_X6_I0+0+0+0], v[vgprValuB_X6_I0+0+0+0], a[0:15]
v_mfma_i32_32x32x8i8 a[16+0:31+0], v[vgprValuA_X6_I0+0+0+0], v[vgprValuB_X6_I0+1+0+0], a[16:31]
	;; [unrolled: 1-line block ×3, first 2 shown]


/* closeLoop loopL finalLoop=0 tailLoop=1 */
s_sub_i32 s[sgprLoopCounterL], s[sgprLoopCounterL], 0x8 // dec counterL (tailLoop)
s_add_u32 s[sgprOrigLoopCounter], s[sgprOrigLoopCounter], 0x8 // inc counterL
s_cmp_le_i32 s[sgprLoopCounterL], 0x0              // counterL<=0
s_cbranch_scc1 TailLoopEndL_7                      // exit LoopL


/* tail loop unroll iter 7 */


/* local read a */

_ds_load_u8 v[vgprValuA_X7_I0+0], v[vgprLocalReadAddrA] offset:0 // L -> Reg lro=0 swapByteOffset=0 ti=128 vIdx=0 rIdx=0 oIdx=0 buffer=7 iui=0
_ds_load_u8 v105, v[vgprLocalReadAddrA] offset:128 // L -> Reg lro=0 swapByteOffset=0 ti=128 vIdx=0 rIdx=1 oIdx=0 buffer=7 iui=0
_ds_load_u8_d16_hi v106, v[vgprLocalReadAddrA] offset:256 // L -> Reg lro=0 swapByteOffset=0 ti=128 vIdx=0 rIdx=2 oIdx=0 buffer=7 iui=0
_ds_load_u8_d16_hi v107, v[vgprLocalReadAddrA] offset:384 // L -> Reg lro=0 swapByteOffset=0 ti=128 vIdx=0 rIdx=3 oIdx=0 buffer=7 iui=0


/* local read b */

_ds_load_b32 v[vgprValuB_X7_I0+0], v[vgprLocalReadAddrB] offset:0 // L -> Reg lro=0 swapByteOffset=0 ti=32 vIdx=0 rIdx=0 oIdx=0 buffer=7 iui=0
_ds_load_b32 v[vgprValuB_X7_I0+1], v[vgprLocalReadAddrB] offset:4608 // L -> Reg lro=0 swapByteOffset=0 ti=32 vIdx=1 rIdx=0 oIdx=0 buffer=7 iui=0
	;; [unrolled: 1-line block ×3, first 2 shown]


/* local read inc a */

s_mov_b32 s33, 0x400                               // inc
_v_add_co_u32 v[vgprLocalReadAddrA], vcc, s33, v[vgprLocalReadAddrA] // lrA += 1024 (LSU*(MT+PAD)*bpe)


/* local read inc b */

s_mov_b32 s33, 0x8                                 // inc
_v_add_co_u32 v[vgprLocalReadAddrB], vcc, s33, v[vgprLocalReadAddrB] // lrB += 8 (LSU*bpe)

s_waitcnt lgkmcnt(0)                               // lgkmcnt=0 vmcnt=-14wait for local read

_v_lshl_or_b32 v[vgprValuA_X7_I0+0], v105, 0x8, v[vgprValuA_X7_I0+0] // pack two int8 Vgpr to one half Vgpr
_v_lshl_or_b32 v106, v107, 0x8, v106               // pack two int8 Vgpr to one half Vgpr
v_or_b32 v[vgprValuA_X7_I0+0], v[vgprValuA_X7_I0+0], v106 // pack two half Vgpr to one Vgpr


/* tail loop mfma iter 7: numReadsIterCoalescedA=1, numReadsIterCoalescedB=1 */
v_and_b32 v105, 63, v[vgprSerial]                  // v105 = v[vgprSerial] % 64
v_lshrrev_b32 v105, 5, v105                        // v105 = v105 / 32
v_lshlrev_b32 v105, 0x2, v105                      // v105 = v105 * 4
v_cmp_ge_i32 s[34:35], v105, s[sgprLoopCounterL]   // check K index >= Size L
v_cndmask_b32 v[vgprValuB_X7_I0+0+0+0+0], v[vgprValuB_X7_I0+0+0+0+0], 0x0, s[34:35] // set 0 if K_idx >= sizeL
v_cndmask_b32 v[vgprValuB_X7_I0+1+0+0+0], v[vgprValuB_X7_I0+1+0+0+0], 0x0, s[34:35] // set 0 if K_idx >= sizeL
	;; [unrolled: 1-line block ×3, first 2 shown]
_v_sub_u32 v105, s[sgprLoopCounterL], v105         // get distance between size and k index
v_cmp_lt_i32 s[34:35], v105, 4                     // set partial 0 if distance less than input per thread
s_and_b32 s36, s[sgprLoopCounterL], 3              // get inputs for edge thread
s_sub_u32 s36, 4, s36                              // use shift to fill 0 for outside element
s_lshl_b32 s36, s36, 3                             // use shift to fill 0 for outside element
v_mov_b32 v106, -1                                 // set 0xffffffff
v_lshrrev_b32 v106, s36, v106                      // rshift mask for partial k
v_cndmask_b32 v106, -1, v106, s[34:35]             // select shifted mask for partial k
v_and_b32 v[vgprValuB_X7_I0+0+0+0+0], v[vgprValuB_X7_I0+0+0+0+0], v106 // 
v_and_b32 v[vgprValuB_X7_I0+1+0+0+0], v[vgprValuB_X7_I0+1+0+0+0], v106 // 
	;; [unrolled: 1-line block ×3, first 2 shown]
s_nop 1
v_mfma_i32_32x32x8i8 a[0+0:15+0], v[vgprValuA_X7_I0+0+0+0], v[vgprValuB_X7_I0+0+0+0], a[0:15]
v_mfma_i32_32x32x8i8 a[16+0:31+0], v[vgprValuA_X7_I0+0+0+0], v[vgprValuB_X7_I0+1+0+0], a[16:31]
	;; [unrolled: 1-line block ×3, first 2 shown]


/* closeLoop loopL finalLoop=0 tailLoop=1 */
s_sub_i32 s[sgprLoopCounterL], s[sgprLoopCounterL], 0x8 // dec counterL (tailLoop)
s_add_u32 s[sgprOrigLoopCounter], s[sgprOrigLoopCounter], 0x8 // inc counterL
s_cmp_le_i32 s[sgprLoopCounterL], 0x0              // counterL<=0
s_cbranch_scc1 TailLoopEndL_7                      // exit LoopL


/* tail loop unroll iter 8 */


/* local read a */

_ds_load_u8 v[vgprValuA_X8_I0+0], v[vgprLocalReadAddrA] offset:0 // L -> Reg lro=0 swapByteOffset=0 ti=128 vIdx=0 rIdx=0 oIdx=0 buffer=8 iui=0
_ds_load_u8 v105, v[vgprLocalReadAddrA] offset:128 // L -> Reg lro=0 swapByteOffset=0 ti=128 vIdx=0 rIdx=1 oIdx=0 buffer=8 iui=0
_ds_load_u8_d16_hi v106, v[vgprLocalReadAddrA] offset:256 // L -> Reg lro=0 swapByteOffset=0 ti=128 vIdx=0 rIdx=2 oIdx=0 buffer=8 iui=0
_ds_load_u8_d16_hi v107, v[vgprLocalReadAddrA] offset:384 // L -> Reg lro=0 swapByteOffset=0 ti=128 vIdx=0 rIdx=3 oIdx=0 buffer=8 iui=0


/* local read b */

_ds_load_b32 v[vgprValuB_X8_I0+0], v[vgprLocalReadAddrB] offset:0 // L -> Reg lro=0 swapByteOffset=0 ti=32 vIdx=0 rIdx=0 oIdx=0 buffer=8 iui=0
_ds_load_b32 v[vgprValuB_X8_I0+1], v[vgprLocalReadAddrB] offset:4608 // L -> Reg lro=0 swapByteOffset=0 ti=32 vIdx=1 rIdx=0 oIdx=0 buffer=8 iui=0
	;; [unrolled: 1-line block ×3, first 2 shown]


/* local read inc a */

s_mov_b32 s33, 0x400                               // inc
_v_add_co_u32 v[vgprLocalReadAddrA], vcc, s33, v[vgprLocalReadAddrA] // lrA += 1024 (LSU*(MT+PAD)*bpe)


/* local read inc b */

s_mov_b32 s33, 0x8                                 // inc
_v_add_co_u32 v[vgprLocalReadAddrB], vcc, s33, v[vgprLocalReadAddrB] // lrB += 8 (LSU*bpe)

s_waitcnt lgkmcnt(0)                               // lgkmcnt=0 vmcnt=-14wait for local read

_v_lshl_or_b32 v[vgprValuA_X8_I0+0], v105, 0x8, v[vgprValuA_X8_I0+0] // pack two int8 Vgpr to one half Vgpr
_v_lshl_or_b32 v106, v107, 0x8, v106               // pack two int8 Vgpr to one half Vgpr
v_or_b32 v[vgprValuA_X8_I0+0], v[vgprValuA_X8_I0+0], v106 // pack two half Vgpr to one Vgpr


/* tail loop mfma iter 8: numReadsIterCoalescedA=1, numReadsIterCoalescedB=1 */
v_and_b32 v105, 63, v[vgprSerial]                  // v105 = v[vgprSerial] % 64
v_lshrrev_b32 v105, 5, v105                        // v105 = v105 / 32
v_lshlrev_b32 v105, 0x2, v105                      // v105 = v105 * 4
v_cmp_ge_i32 s[34:35], v105, s[sgprLoopCounterL]   // check K index >= Size L
v_cndmask_b32 v[vgprValuB_X8_I0+0+0+0+0], v[vgprValuB_X8_I0+0+0+0+0], 0x0, s[34:35] // set 0 if K_idx >= sizeL
v_cndmask_b32 v[vgprValuB_X8_I0+1+0+0+0], v[vgprValuB_X8_I0+1+0+0+0], 0x0, s[34:35] // set 0 if K_idx >= sizeL
	;; [unrolled: 1-line block ×3, first 2 shown]
_v_sub_u32 v105, s[sgprLoopCounterL], v105         // get distance between size and k index
v_cmp_lt_i32 s[34:35], v105, 4                     // set partial 0 if distance less than input per thread
s_and_b32 s36, s[sgprLoopCounterL], 3              // get inputs for edge thread
s_sub_u32 s36, 4, s36                              // use shift to fill 0 for outside element
s_lshl_b32 s36, s36, 3                             // use shift to fill 0 for outside element
v_mov_b32 v106, -1                                 // set 0xffffffff
v_lshrrev_b32 v106, s36, v106                      // rshift mask for partial k
v_cndmask_b32 v106, -1, v106, s[34:35]             // select shifted mask for partial k
v_and_b32 v[vgprValuB_X8_I0+0+0+0+0], v[vgprValuB_X8_I0+0+0+0+0], v106 // 
v_and_b32 v[vgprValuB_X8_I0+1+0+0+0], v[vgprValuB_X8_I0+1+0+0+0], v106 // 
	;; [unrolled: 1-line block ×3, first 2 shown]
s_nop 1
v_mfma_i32_32x32x8i8 a[0+0:15+0], v[vgprValuA_X8_I0+0+0+0], v[vgprValuB_X8_I0+0+0+0], a[0:15]
v_mfma_i32_32x32x8i8 a[16+0:31+0], v[vgprValuA_X8_I0+0+0+0], v[vgprValuB_X8_I0+1+0+0], a[16:31]
	;; [unrolled: 1-line block ×3, first 2 shown]


/* closeLoop loopL finalLoop=0 tailLoop=1 */
s_sub_i32 s[sgprLoopCounterL], s[sgprLoopCounterL], 0x8 // dec counterL (tailLoop)
s_add_u32 s[sgprOrigLoopCounter], s[sgprOrigLoopCounter], 0x8 // inc counterL
s_cmp_le_i32 s[sgprLoopCounterL], 0x0              // counterL<=0
s_cbranch_scc1 TailLoopEndL_7                      // exit LoopL


/* tail loop unroll iter 9 */


/* local read a */

_ds_load_u8 v[vgprValuA_X9_I0+0], v[vgprLocalReadAddrA] offset:0 // L -> Reg lro=0 swapByteOffset=0 ti=128 vIdx=0 rIdx=0 oIdx=0 buffer=9 iui=0
_ds_load_u8 v105, v[vgprLocalReadAddrA] offset:128 // L -> Reg lro=0 swapByteOffset=0 ti=128 vIdx=0 rIdx=1 oIdx=0 buffer=9 iui=0
_ds_load_u8_d16_hi v106, v[vgprLocalReadAddrA] offset:256 // L -> Reg lro=0 swapByteOffset=0 ti=128 vIdx=0 rIdx=2 oIdx=0 buffer=9 iui=0
_ds_load_u8_d16_hi v107, v[vgprLocalReadAddrA] offset:384 // L -> Reg lro=0 swapByteOffset=0 ti=128 vIdx=0 rIdx=3 oIdx=0 buffer=9 iui=0


/* local read b */

_ds_load_b32 v[vgprValuB_X9_I0+0], v[vgprLocalReadAddrB] offset:0 // L -> Reg lro=0 swapByteOffset=0 ti=32 vIdx=0 rIdx=0 oIdx=0 buffer=9 iui=0
_ds_load_b32 v[vgprValuB_X9_I0+1], v[vgprLocalReadAddrB] offset:4608 // L -> Reg lro=0 swapByteOffset=0 ti=32 vIdx=1 rIdx=0 oIdx=0 buffer=9 iui=0
	;; [unrolled: 1-line block ×3, first 2 shown]


/* local read inc a */

s_mov_b32 s33, 0x400                               // inc
_v_add_co_u32 v[vgprLocalReadAddrA], vcc, s33, v[vgprLocalReadAddrA] // lrA += 1024 (LSU*(MT+PAD)*bpe)


/* local read inc b */

s_mov_b32 s33, 0x8                                 // inc
_v_add_co_u32 v[vgprLocalReadAddrB], vcc, s33, v[vgprLocalReadAddrB] // lrB += 8 (LSU*bpe)

s_waitcnt lgkmcnt(0)                               // lgkmcnt=0 vmcnt=-14wait for local read

_v_lshl_or_b32 v[vgprValuA_X9_I0+0], v105, 0x8, v[vgprValuA_X9_I0+0] // pack two int8 Vgpr to one half Vgpr
_v_lshl_or_b32 v106, v107, 0x8, v106               // pack two int8 Vgpr to one half Vgpr
v_or_b32 v[vgprValuA_X9_I0+0], v[vgprValuA_X9_I0+0], v106 // pack two half Vgpr to one Vgpr


/* tail loop mfma iter 9: numReadsIterCoalescedA=1, numReadsIterCoalescedB=1 */
v_and_b32 v105, 63, v[vgprSerial]                  // v105 = v[vgprSerial] % 64
v_lshrrev_b32 v105, 5, v105                        // v105 = v105 / 32
v_lshlrev_b32 v105, 0x2, v105                      // v105 = v105 * 4
v_cmp_ge_i32 s[34:35], v105, s[sgprLoopCounterL]   // check K index >= Size L
v_cndmask_b32 v[vgprValuB_X9_I0+0+0+0+0], v[vgprValuB_X9_I0+0+0+0+0], 0x0, s[34:35] // set 0 if K_idx >= sizeL
v_cndmask_b32 v[vgprValuB_X9_I0+1+0+0+0], v[vgprValuB_X9_I0+1+0+0+0], 0x0, s[34:35] // set 0 if K_idx >= sizeL
v_cndmask_b32 v[vgprValuB_X9_I0+2+0+0+0], v[vgprValuB_X9_I0+2+0+0+0], 0x0, s[34:35] // set 0 if K_idx >= sizeL
_v_sub_u32 v105, s[sgprLoopCounterL], v105         // get distance between size and k index
v_cmp_lt_i32 s[34:35], v105, 4                     // set partial 0 if distance less than input per thread
s_and_b32 s36, s[sgprLoopCounterL], 3              // get inputs for edge thread
s_sub_u32 s36, 4, s36                              // use shift to fill 0 for outside element
s_lshl_b32 s36, s36, 3                             // use shift to fill 0 for outside element
v_mov_b32 v106, -1                                 // set 0xffffffff
v_lshrrev_b32 v106, s36, v106                      // rshift mask for partial k
v_cndmask_b32 v106, -1, v106, s[34:35]             // select shifted mask for partial k
v_and_b32 v[vgprValuB_X9_I0+0+0+0+0], v[vgprValuB_X9_I0+0+0+0+0], v106 // 
v_and_b32 v[vgprValuB_X9_I0+1+0+0+0], v[vgprValuB_X9_I0+1+0+0+0], v106 // 
	;; [unrolled: 1-line block ×3, first 2 shown]
s_nop 1
v_mfma_i32_32x32x8i8 a[0+0:15+0], v[vgprValuA_X9_I0+0+0+0], v[vgprValuB_X9_I0+0+0+0], a[0:15]
v_mfma_i32_32x32x8i8 a[16+0:31+0], v[vgprValuA_X9_I0+0+0+0], v[vgprValuB_X9_I0+1+0+0], a[16:31]
	;; [unrolled: 1-line block ×3, first 2 shown]


/* closeLoop loopL finalLoop=0 tailLoop=1 */
s_sub_i32 s[sgprLoopCounterL], s[sgprLoopCounterL], 0x8 // dec counterL (tailLoop)
s_add_u32 s[sgprOrigLoopCounter], s[sgprOrigLoopCounter], 0x8 // inc counterL
s_cmp_le_i32 s[sgprLoopCounterL], 0x0              // counterL<=0
s_cbranch_scc1 TailLoopEndL_7                      // exit LoopL


/* tail loop unroll iter 10 */


/* local read a */

_ds_load_u8 v[vgprValuA_X10_I0+0], v[vgprLocalReadAddrA] offset:0 // L -> Reg lro=0 swapByteOffset=0 ti=128 vIdx=0 rIdx=0 oIdx=0 buffer=10 iui=0
_ds_load_u8 v105, v[vgprLocalReadAddrA] offset:128 // L -> Reg lro=0 swapByteOffset=0 ti=128 vIdx=0 rIdx=1 oIdx=0 buffer=10 iui=0
_ds_load_u8_d16_hi v106, v[vgprLocalReadAddrA] offset:256 // L -> Reg lro=0 swapByteOffset=0 ti=128 vIdx=0 rIdx=2 oIdx=0 buffer=10 iui=0
_ds_load_u8_d16_hi v107, v[vgprLocalReadAddrA] offset:384 // L -> Reg lro=0 swapByteOffset=0 ti=128 vIdx=0 rIdx=3 oIdx=0 buffer=10 iui=0


/* local read b */

_ds_load_b32 v[vgprValuB_X10_I0+0], v[vgprLocalReadAddrB] offset:0 // L -> Reg lro=0 swapByteOffset=0 ti=32 vIdx=0 rIdx=0 oIdx=0 buffer=10 iui=0
_ds_load_b32 v[vgprValuB_X10_I0+1], v[vgprLocalReadAddrB] offset:4608 // L -> Reg lro=0 swapByteOffset=0 ti=32 vIdx=1 rIdx=0 oIdx=0 buffer=10 iui=0
	;; [unrolled: 1-line block ×3, first 2 shown]


/* local read inc a */

s_mov_b32 s33, 0x400                               // inc
_v_add_co_u32 v[vgprLocalReadAddrA], vcc, s33, v[vgprLocalReadAddrA] // lrA += 1024 (LSU*(MT+PAD)*bpe)


/* local read inc b */

s_mov_b32 s33, 0x8                                 // inc
_v_add_co_u32 v[vgprLocalReadAddrB], vcc, s33, v[vgprLocalReadAddrB] // lrB += 8 (LSU*bpe)

s_waitcnt lgkmcnt(0)                               // lgkmcnt=0 vmcnt=-14wait for local read

_v_lshl_or_b32 v[vgprValuA_X10_I0+0], v105, 0x8, v[vgprValuA_X10_I0+0] // pack two int8 Vgpr to one half Vgpr
_v_lshl_or_b32 v106, v107, 0x8, v106               // pack two int8 Vgpr to one half Vgpr
v_or_b32 v[vgprValuA_X10_I0+0], v[vgprValuA_X10_I0+0], v106 // pack two half Vgpr to one Vgpr


/* tail loop mfma iter 10: numReadsIterCoalescedA=1, numReadsIterCoalescedB=1 */
v_and_b32 v105, 63, v[vgprSerial]                  // v105 = v[vgprSerial] % 64
v_lshrrev_b32 v105, 5, v105                        // v105 = v105 / 32
v_lshlrev_b32 v105, 0x2, v105                      // v105 = v105 * 4
v_cmp_ge_i32 s[34:35], v105, s[sgprLoopCounterL]   // check K index >= Size L
v_cndmask_b32 v[vgprValuB_X10_I0+0+0+0+0], v[vgprValuB_X10_I0+0+0+0+0], 0x0, s[34:35] // set 0 if K_idx >= sizeL
v_cndmask_b32 v[vgprValuB_X10_I0+1+0+0+0], v[vgprValuB_X10_I0+1+0+0+0], 0x0, s[34:35] // set 0 if K_idx >= sizeL
	;; [unrolled: 1-line block ×3, first 2 shown]
_v_sub_u32 v105, s[sgprLoopCounterL], v105         // get distance between size and k index
v_cmp_lt_i32 s[34:35], v105, 4                     // set partial 0 if distance less than input per thread
s_and_b32 s36, s[sgprLoopCounterL], 3              // get inputs for edge thread
s_sub_u32 s36, 4, s36                              // use shift to fill 0 for outside element
s_lshl_b32 s36, s36, 3                             // use shift to fill 0 for outside element
v_mov_b32 v106, -1                                 // set 0xffffffff
v_lshrrev_b32 v106, s36, v106                      // rshift mask for partial k
v_cndmask_b32 v106, -1, v106, s[34:35]             // select shifted mask for partial k
v_and_b32 v[vgprValuB_X10_I0+0+0+0+0], v[vgprValuB_X10_I0+0+0+0+0], v106 // 
v_and_b32 v[vgprValuB_X10_I0+1+0+0+0], v[vgprValuB_X10_I0+1+0+0+0], v106 // 
	;; [unrolled: 1-line block ×3, first 2 shown]
s_nop 1
v_mfma_i32_32x32x8i8 a[0+0:15+0], v[vgprValuA_X10_I0+0+0+0], v[vgprValuB_X10_I0+0+0+0], a[0:15]
v_mfma_i32_32x32x8i8 a[16+0:31+0], v[vgprValuA_X10_I0+0+0+0], v[vgprValuB_X10_I0+1+0+0], a[16:31]
	;; [unrolled: 1-line block ×3, first 2 shown]


/* closeLoop loopL finalLoop=0 tailLoop=1 */
s_sub_i32 s[sgprLoopCounterL], s[sgprLoopCounterL], 0x8 // dec counterL (tailLoop)
s_add_u32 s[sgprOrigLoopCounter], s[sgprOrigLoopCounter], 0x8 // inc counterL
s_cmp_le_i32 s[sgprLoopCounterL], 0x0              // counterL<=0
s_cbranch_scc1 TailLoopEndL_7                      // exit LoopL


/* tail loop unroll iter 11 */


/* local read a */

_ds_load_u8 v[vgprValuA_X11_I0+0], v[vgprLocalReadAddrA] offset:0 // L -> Reg lro=0 swapByteOffset=0 ti=128 vIdx=0 rIdx=0 oIdx=0 buffer=11 iui=0
_ds_load_u8 v105, v[vgprLocalReadAddrA] offset:128 // L -> Reg lro=0 swapByteOffset=0 ti=128 vIdx=0 rIdx=1 oIdx=0 buffer=11 iui=0
_ds_load_u8_d16_hi v106, v[vgprLocalReadAddrA] offset:256 // L -> Reg lro=0 swapByteOffset=0 ti=128 vIdx=0 rIdx=2 oIdx=0 buffer=11 iui=0
_ds_load_u8_d16_hi v107, v[vgprLocalReadAddrA] offset:384 // L -> Reg lro=0 swapByteOffset=0 ti=128 vIdx=0 rIdx=3 oIdx=0 buffer=11 iui=0


/* local read b */

_ds_load_b32 v[vgprValuB_X11_I0+0], v[vgprLocalReadAddrB] offset:0 // L -> Reg lro=0 swapByteOffset=0 ti=32 vIdx=0 rIdx=0 oIdx=0 buffer=11 iui=0
_ds_load_b32 v[vgprValuB_X11_I0+1], v[vgprLocalReadAddrB] offset:4608 // L -> Reg lro=0 swapByteOffset=0 ti=32 vIdx=1 rIdx=0 oIdx=0 buffer=11 iui=0
	;; [unrolled: 1-line block ×3, first 2 shown]


/* local read inc a */

s_mov_b32 s33, 0x400                               // inc
_v_add_co_u32 v[vgprLocalReadAddrA], vcc, s33, v[vgprLocalReadAddrA] // lrA += 1024 (LSU*(MT+PAD)*bpe)


/* local read inc b */

s_mov_b32 s33, 0x8                                 // inc
_v_add_co_u32 v[vgprLocalReadAddrB], vcc, s33, v[vgprLocalReadAddrB] // lrB += 8 (LSU*bpe)

s_waitcnt lgkmcnt(0)                               // lgkmcnt=0 vmcnt=-14wait for local read

_v_lshl_or_b32 v[vgprValuA_X11_I0+0], v105, 0x8, v[vgprValuA_X11_I0+0] // pack two int8 Vgpr to one half Vgpr
_v_lshl_or_b32 v106, v107, 0x8, v106               // pack two int8 Vgpr to one half Vgpr
v_or_b32 v[vgprValuA_X11_I0+0], v[vgprValuA_X11_I0+0], v106 // pack two half Vgpr to one Vgpr


/* tail loop mfma iter 11: numReadsIterCoalescedA=1, numReadsIterCoalescedB=1 */
v_and_b32 v105, 63, v[vgprSerial]                  // v105 = v[vgprSerial] % 64
v_lshrrev_b32 v105, 5, v105                        // v105 = v105 / 32
v_lshlrev_b32 v105, 0x2, v105                      // v105 = v105 * 4
v_cmp_ge_i32 s[34:35], v105, s[sgprLoopCounterL]   // check K index >= Size L
v_cndmask_b32 v[vgprValuB_X11_I0+0+0+0+0], v[vgprValuB_X11_I0+0+0+0+0], 0x0, s[34:35] // set 0 if K_idx >= sizeL
v_cndmask_b32 v[vgprValuB_X11_I0+1+0+0+0], v[vgprValuB_X11_I0+1+0+0+0], 0x0, s[34:35] // set 0 if K_idx >= sizeL
	;; [unrolled: 1-line block ×3, first 2 shown]
_v_sub_u32 v105, s[sgprLoopCounterL], v105         // get distance between size and k index
v_cmp_lt_i32 s[34:35], v105, 4                     // set partial 0 if distance less than input per thread
s_and_b32 s36, s[sgprLoopCounterL], 3              // get inputs for edge thread
s_sub_u32 s36, 4, s36                              // use shift to fill 0 for outside element
s_lshl_b32 s36, s36, 3                             // use shift to fill 0 for outside element
v_mov_b32 v106, -1                                 // set 0xffffffff
v_lshrrev_b32 v106, s36, v106                      // rshift mask for partial k
v_cndmask_b32 v106, -1, v106, s[34:35]             // select shifted mask for partial k
v_and_b32 v[vgprValuB_X11_I0+0+0+0+0], v[vgprValuB_X11_I0+0+0+0+0], v106 // 
v_and_b32 v[vgprValuB_X11_I0+1+0+0+0], v[vgprValuB_X11_I0+1+0+0+0], v106 // 
	;; [unrolled: 1-line block ×3, first 2 shown]
s_nop 1
v_mfma_i32_32x32x8i8 a[0+0:15+0], v[vgprValuA_X11_I0+0+0+0], v[vgprValuB_X11_I0+0+0+0], a[0:15]
v_mfma_i32_32x32x8i8 a[16+0:31+0], v[vgprValuA_X11_I0+0+0+0], v[vgprValuB_X11_I0+1+0+0], a[16:31]
	;; [unrolled: 1-line block ×3, first 2 shown]


/* closeLoop loopL finalLoop=0 tailLoop=1 */
s_sub_i32 s[sgprLoopCounterL], s[sgprLoopCounterL], 0x8 // dec counterL (tailLoop)
s_add_u32 s[sgprOrigLoopCounter], s[sgprOrigLoopCounter], 0x8 // inc counterL
s_cmp_le_i32 s[sgprLoopCounterL], 0x0              // counterL<=0
s_cbranch_scc1 TailLoopEndL_7                      // exit LoopL


/* tail loop unroll iter 12 */


/* local read a */

_ds_load_u8 v[vgprValuA_X12_I0+0], v[vgprLocalReadAddrA] offset:0 // L -> Reg lro=0 swapByteOffset=0 ti=128 vIdx=0 rIdx=0 oIdx=0 buffer=12 iui=0
_ds_load_u8 v105, v[vgprLocalReadAddrA] offset:128 // L -> Reg lro=0 swapByteOffset=0 ti=128 vIdx=0 rIdx=1 oIdx=0 buffer=12 iui=0
_ds_load_u8_d16_hi v106, v[vgprLocalReadAddrA] offset:256 // L -> Reg lro=0 swapByteOffset=0 ti=128 vIdx=0 rIdx=2 oIdx=0 buffer=12 iui=0
_ds_load_u8_d16_hi v107, v[vgprLocalReadAddrA] offset:384 // L -> Reg lro=0 swapByteOffset=0 ti=128 vIdx=0 rIdx=3 oIdx=0 buffer=12 iui=0


/* local read b */

_ds_load_b32 v[vgprValuB_X12_I0+0], v[vgprLocalReadAddrB] offset:0 // L -> Reg lro=0 swapByteOffset=0 ti=32 vIdx=0 rIdx=0 oIdx=0 buffer=12 iui=0
_ds_load_b32 v[vgprValuB_X12_I0+1], v[vgprLocalReadAddrB] offset:4608 // L -> Reg lro=0 swapByteOffset=0 ti=32 vIdx=1 rIdx=0 oIdx=0 buffer=12 iui=0
	;; [unrolled: 1-line block ×3, first 2 shown]


/* local read inc a */

s_mov_b32 s33, 0x400                               // inc
_v_add_co_u32 v[vgprLocalReadAddrA], vcc, s33, v[vgprLocalReadAddrA] // lrA += 1024 (LSU*(MT+PAD)*bpe)


/* local read inc b */

s_mov_b32 s33, 0x8                                 // inc
_v_add_co_u32 v[vgprLocalReadAddrB], vcc, s33, v[vgprLocalReadAddrB] // lrB += 8 (LSU*bpe)

s_waitcnt lgkmcnt(0)                               // lgkmcnt=0 vmcnt=-14wait for local read

_v_lshl_or_b32 v[vgprValuA_X12_I0+0], v105, 0x8, v[vgprValuA_X12_I0+0] // pack two int8 Vgpr to one half Vgpr
_v_lshl_or_b32 v106, v107, 0x8, v106               // pack two int8 Vgpr to one half Vgpr
v_or_b32 v[vgprValuA_X12_I0+0], v[vgprValuA_X12_I0+0], v106 // pack two half Vgpr to one Vgpr


/* tail loop mfma iter 12: numReadsIterCoalescedA=1, numReadsIterCoalescedB=1 */
v_and_b32 v105, 63, v[vgprSerial]                  // v105 = v[vgprSerial] % 64
v_lshrrev_b32 v105, 5, v105                        // v105 = v105 / 32
v_lshlrev_b32 v105, 0x2, v105                      // v105 = v105 * 4
v_cmp_ge_i32 s[34:35], v105, s[sgprLoopCounterL]   // check K index >= Size L
v_cndmask_b32 v[vgprValuB_X12_I0+0+0+0+0], v[vgprValuB_X12_I0+0+0+0+0], 0x0, s[34:35] // set 0 if K_idx >= sizeL
v_cndmask_b32 v[vgprValuB_X12_I0+1+0+0+0], v[vgprValuB_X12_I0+1+0+0+0], 0x0, s[34:35] // set 0 if K_idx >= sizeL
	;; [unrolled: 1-line block ×3, first 2 shown]
_v_sub_u32 v105, s[sgprLoopCounterL], v105         // get distance between size and k index
v_cmp_lt_i32 s[34:35], v105, 4                     // set partial 0 if distance less than input per thread
s_and_b32 s36, s[sgprLoopCounterL], 3              // get inputs for edge thread
s_sub_u32 s36, 4, s36                              // use shift to fill 0 for outside element
s_lshl_b32 s36, s36, 3                             // use shift to fill 0 for outside element
v_mov_b32 v106, -1                                 // set 0xffffffff
v_lshrrev_b32 v106, s36, v106                      // rshift mask for partial k
v_cndmask_b32 v106, -1, v106, s[34:35]             // select shifted mask for partial k
v_and_b32 v[vgprValuB_X12_I0+0+0+0+0], v[vgprValuB_X12_I0+0+0+0+0], v106 // 
v_and_b32 v[vgprValuB_X12_I0+1+0+0+0], v[vgprValuB_X12_I0+1+0+0+0], v106 // 
	;; [unrolled: 1-line block ×3, first 2 shown]
s_nop 1
v_mfma_i32_32x32x8i8 a[0+0:15+0], v[vgprValuA_X12_I0+0+0+0], v[vgprValuB_X12_I0+0+0+0], a[0:15]
v_mfma_i32_32x32x8i8 a[16+0:31+0], v[vgprValuA_X12_I0+0+0+0], v[vgprValuB_X12_I0+1+0+0], a[16:31]
	;; [unrolled: 1-line block ×3, first 2 shown]


/* closeLoop loopL finalLoop=0 tailLoop=1 */
s_sub_i32 s[sgprLoopCounterL], s[sgprLoopCounterL], 0x8 // dec counterL (tailLoop)
s_add_u32 s[sgprOrigLoopCounter], s[sgprOrigLoopCounter], 0x8 // inc counterL
s_cmp_le_i32 s[sgprLoopCounterL], 0x0              // counterL<=0
s_cbranch_scc1 TailLoopEndL_7                      // exit LoopL


/* tail loop unroll iter 13 */


/* local read a */

_ds_load_u8 v[vgprValuA_X13_I0+0], v[vgprLocalReadAddrA] offset:0 // L -> Reg lro=0 swapByteOffset=0 ti=128 vIdx=0 rIdx=0 oIdx=0 buffer=13 iui=0
_ds_load_u8 v105, v[vgprLocalReadAddrA] offset:128 // L -> Reg lro=0 swapByteOffset=0 ti=128 vIdx=0 rIdx=1 oIdx=0 buffer=13 iui=0
_ds_load_u8_d16_hi v106, v[vgprLocalReadAddrA] offset:256 // L -> Reg lro=0 swapByteOffset=0 ti=128 vIdx=0 rIdx=2 oIdx=0 buffer=13 iui=0
_ds_load_u8_d16_hi v107, v[vgprLocalReadAddrA] offset:384 // L -> Reg lro=0 swapByteOffset=0 ti=128 vIdx=0 rIdx=3 oIdx=0 buffer=13 iui=0


/* local read b */

_ds_load_b32 v[vgprValuB_X13_I0+0], v[vgprLocalReadAddrB] offset:0 // L -> Reg lro=0 swapByteOffset=0 ti=32 vIdx=0 rIdx=0 oIdx=0 buffer=13 iui=0
_ds_load_b32 v[vgprValuB_X13_I0+1], v[vgprLocalReadAddrB] offset:4608 // L -> Reg lro=0 swapByteOffset=0 ti=32 vIdx=1 rIdx=0 oIdx=0 buffer=13 iui=0
	;; [unrolled: 1-line block ×3, first 2 shown]


/* local read inc a */

s_mov_b32 s33, 0x400                               // inc
_v_add_co_u32 v[vgprLocalReadAddrA], vcc, s33, v[vgprLocalReadAddrA] // lrA += 1024 (LSU*(MT+PAD)*bpe)


/* local read inc b */

s_mov_b32 s33, 0x8                                 // inc
_v_add_co_u32 v[vgprLocalReadAddrB], vcc, s33, v[vgprLocalReadAddrB] // lrB += 8 (LSU*bpe)

s_waitcnt lgkmcnt(0)                               // lgkmcnt=0 vmcnt=-14wait for local read

_v_lshl_or_b32 v[vgprValuA_X13_I0+0], v105, 0x8, v[vgprValuA_X13_I0+0] // pack two int8 Vgpr to one half Vgpr
_v_lshl_or_b32 v106, v107, 0x8, v106               // pack two int8 Vgpr to one half Vgpr
v_or_b32 v[vgprValuA_X13_I0+0], v[vgprValuA_X13_I0+0], v106 // pack two half Vgpr to one Vgpr


/* tail loop mfma iter 13: numReadsIterCoalescedA=1, numReadsIterCoalescedB=1 */
v_and_b32 v105, 63, v[vgprSerial]                  // v105 = v[vgprSerial] % 64
v_lshrrev_b32 v105, 5, v105                        // v105 = v105 / 32
v_lshlrev_b32 v105, 0x2, v105                      // v105 = v105 * 4
v_cmp_ge_i32 s[34:35], v105, s[sgprLoopCounterL]   // check K index >= Size L
v_cndmask_b32 v[vgprValuB_X13_I0+0+0+0+0], v[vgprValuB_X13_I0+0+0+0+0], 0x0, s[34:35] // set 0 if K_idx >= sizeL
v_cndmask_b32 v[vgprValuB_X13_I0+1+0+0+0], v[vgprValuB_X13_I0+1+0+0+0], 0x0, s[34:35] // set 0 if K_idx >= sizeL
	;; [unrolled: 1-line block ×3, first 2 shown]
_v_sub_u32 v105, s[sgprLoopCounterL], v105         // get distance between size and k index
v_cmp_lt_i32 s[34:35], v105, 4                     // set partial 0 if distance less than input per thread
s_and_b32 s36, s[sgprLoopCounterL], 3              // get inputs for edge thread
s_sub_u32 s36, 4, s36                              // use shift to fill 0 for outside element
s_lshl_b32 s36, s36, 3                             // use shift to fill 0 for outside element
v_mov_b32 v106, -1                                 // set 0xffffffff
v_lshrrev_b32 v106, s36, v106                      // rshift mask for partial k
v_cndmask_b32 v106, -1, v106, s[34:35]             // select shifted mask for partial k
v_and_b32 v[vgprValuB_X13_I0+0+0+0+0], v[vgprValuB_X13_I0+0+0+0+0], v106 // 
v_and_b32 v[vgprValuB_X13_I0+1+0+0+0], v[vgprValuB_X13_I0+1+0+0+0], v106 // 
	;; [unrolled: 1-line block ×3, first 2 shown]
s_nop 1
v_mfma_i32_32x32x8i8 a[0+0:15+0], v[vgprValuA_X13_I0+0+0+0], v[vgprValuB_X13_I0+0+0+0], a[0:15]
v_mfma_i32_32x32x8i8 a[16+0:31+0], v[vgprValuA_X13_I0+0+0+0], v[vgprValuB_X13_I0+1+0+0], a[16:31]
	;; [unrolled: 1-line block ×3, first 2 shown]


/* closeLoop loopL finalLoop=0 tailLoop=1 */
s_sub_i32 s[sgprLoopCounterL], s[sgprLoopCounterL], 0x8 // dec counterL (tailLoop)
s_add_u32 s[sgprOrigLoopCounter], s[sgprOrigLoopCounter], 0x8 // inc counterL
s_cmp_le_i32 s[sgprLoopCounterL], 0x0              // counterL<=0
s_cbranch_scc1 TailLoopEndL_7                      // exit LoopL


/* tail loop unroll iter 14 */


/* local read a */

_ds_load_u8 v[vgprValuA_X14_I0+0], v[vgprLocalReadAddrA] offset:0 // L -> Reg lro=0 swapByteOffset=0 ti=128 vIdx=0 rIdx=0 oIdx=0 buffer=14 iui=0
_ds_load_u8 v105, v[vgprLocalReadAddrA] offset:128 // L -> Reg lro=0 swapByteOffset=0 ti=128 vIdx=0 rIdx=1 oIdx=0 buffer=14 iui=0
_ds_load_u8_d16_hi v106, v[vgprLocalReadAddrA] offset:256 // L -> Reg lro=0 swapByteOffset=0 ti=128 vIdx=0 rIdx=2 oIdx=0 buffer=14 iui=0
_ds_load_u8_d16_hi v107, v[vgprLocalReadAddrA] offset:384 // L -> Reg lro=0 swapByteOffset=0 ti=128 vIdx=0 rIdx=3 oIdx=0 buffer=14 iui=0


/* local read b */

_ds_load_b32 v[vgprValuB_X14_I0+0], v[vgprLocalReadAddrB] offset:0 // L -> Reg lro=0 swapByteOffset=0 ti=32 vIdx=0 rIdx=0 oIdx=0 buffer=14 iui=0
_ds_load_b32 v[vgprValuB_X14_I0+1], v[vgprLocalReadAddrB] offset:4608 // L -> Reg lro=0 swapByteOffset=0 ti=32 vIdx=1 rIdx=0 oIdx=0 buffer=14 iui=0
	;; [unrolled: 1-line block ×3, first 2 shown]


/* local read inc a */

s_mov_b32 s33, 0x400                               // inc
_v_add_co_u32 v[vgprLocalReadAddrA], vcc, s33, v[vgprLocalReadAddrA] // lrA += 1024 (LSU*(MT+PAD)*bpe)


/* local read inc b */

s_mov_b32 s33, 0x8                                 // inc
_v_add_co_u32 v[vgprLocalReadAddrB], vcc, s33, v[vgprLocalReadAddrB] // lrB += 8 (LSU*bpe)

s_waitcnt lgkmcnt(0)                               // lgkmcnt=0 vmcnt=-14wait for local read

_v_lshl_or_b32 v[vgprValuA_X14_I0+0], v105, 0x8, v[vgprValuA_X14_I0+0] // pack two int8 Vgpr to one half Vgpr
_v_lshl_or_b32 v106, v107, 0x8, v106               // pack two int8 Vgpr to one half Vgpr
v_or_b32 v[vgprValuA_X14_I0+0], v[vgprValuA_X14_I0+0], v106 // pack two half Vgpr to one Vgpr


/* tail loop mfma iter 14: numReadsIterCoalescedA=1, numReadsIterCoalescedB=1 */
v_and_b32 v105, 63, v[vgprSerial]                  // v105 = v[vgprSerial] % 64
v_lshrrev_b32 v105, 5, v105                        // v105 = v105 / 32
v_lshlrev_b32 v105, 0x2, v105                      // v105 = v105 * 4
v_cmp_ge_i32 s[34:35], v105, s[sgprLoopCounterL]   // check K index >= Size L
v_cndmask_b32 v[vgprValuB_X14_I0+0+0+0+0], v[vgprValuB_X14_I0+0+0+0+0], 0x0, s[34:35] // set 0 if K_idx >= sizeL
v_cndmask_b32 v[vgprValuB_X14_I0+1+0+0+0], v[vgprValuB_X14_I0+1+0+0+0], 0x0, s[34:35] // set 0 if K_idx >= sizeL
	;; [unrolled: 1-line block ×3, first 2 shown]
_v_sub_u32 v105, s[sgprLoopCounterL], v105         // get distance between size and k index
v_cmp_lt_i32 s[34:35], v105, 4                     // set partial 0 if distance less than input per thread
s_and_b32 s36, s[sgprLoopCounterL], 3              // get inputs for edge thread
s_sub_u32 s36, 4, s36                              // use shift to fill 0 for outside element
s_lshl_b32 s36, s36, 3                             // use shift to fill 0 for outside element
v_mov_b32 v106, -1                                 // set 0xffffffff
v_lshrrev_b32 v106, s36, v106                      // rshift mask for partial k
v_cndmask_b32 v106, -1, v106, s[34:35]             // select shifted mask for partial k
v_and_b32 v[vgprValuB_X14_I0+0+0+0+0], v[vgprValuB_X14_I0+0+0+0+0], v106 // 
v_and_b32 v[vgprValuB_X14_I0+1+0+0+0], v[vgprValuB_X14_I0+1+0+0+0], v106 // 
	;; [unrolled: 1-line block ×3, first 2 shown]
s_nop 1
v_mfma_i32_32x32x8i8 a[0+0:15+0], v[vgprValuA_X14_I0+0+0+0], v[vgprValuB_X14_I0+0+0+0], a[0:15]
v_mfma_i32_32x32x8i8 a[16+0:31+0], v[vgprValuA_X14_I0+0+0+0], v[vgprValuB_X14_I0+1+0+0], a[16:31]
	;; [unrolled: 1-line block ×3, first 2 shown]


/* closeLoop loopL finalLoop=0 tailLoop=1 */
s_sub_i32 s[sgprLoopCounterL], s[sgprLoopCounterL], 0x8 // dec counterL (tailLoop)
s_add_u32 s[sgprOrigLoopCounter], s[sgprOrigLoopCounter], 0x8 // inc counterL
s_cmp_le_i32 s[sgprLoopCounterL], 0x0              // counterL<=0
s_cbranch_scc1 TailLoopEndL_7                      // exit LoopL


/* tail loop unroll iter 15 */


/* local read a */

_ds_load_u8 v[vgprValuA_X15_I0+0], v[vgprLocalReadAddrA] offset:0 // L -> Reg lro=0 swapByteOffset=0 ti=128 vIdx=0 rIdx=0 oIdx=0 buffer=15 iui=0
_ds_load_u8 v105, v[vgprLocalReadAddrA] offset:128 // L -> Reg lro=0 swapByteOffset=0 ti=128 vIdx=0 rIdx=1 oIdx=0 buffer=15 iui=0
_ds_load_u8_d16_hi v106, v[vgprLocalReadAddrA] offset:256 // L -> Reg lro=0 swapByteOffset=0 ti=128 vIdx=0 rIdx=2 oIdx=0 buffer=15 iui=0
_ds_load_u8_d16_hi v107, v[vgprLocalReadAddrA] offset:384 // L -> Reg lro=0 swapByteOffset=0 ti=128 vIdx=0 rIdx=3 oIdx=0 buffer=15 iui=0


/* local read b */

_ds_load_b32 v[vgprValuB_X15_I0+0], v[vgprLocalReadAddrB] offset:0 // L -> Reg lro=0 swapByteOffset=0 ti=32 vIdx=0 rIdx=0 oIdx=0 buffer=15 iui=0
_ds_load_b32 v[vgprValuB_X15_I0+1], v[vgprLocalReadAddrB] offset:4608 // L -> Reg lro=0 swapByteOffset=0 ti=32 vIdx=1 rIdx=0 oIdx=0 buffer=15 iui=0
_ds_load_b32 v[vgprValuB_X15_I0+2], v[vgprLocalReadAddrB] offset:9216 // L -> Reg lro=0 swapByteOffset=0 ti=32 vIdx=2 rIdx=0 oIdx=0 buffer=15 iui=0


/* local read inc a */

s_mov_b32 s33, 0x400                               // inc
_v_add_co_u32 v[vgprLocalReadAddrA], vcc, s33, v[vgprLocalReadAddrA] // lrA += 1024 (LSU*(MT+PAD)*bpe)


/* local read inc b */

s_mov_b32 s33, 0x18                                // inc
_v_add_co_u32 v[vgprLocalReadAddrB], vcc, s33, v[vgprLocalReadAddrB] // lrB += 24 (LSU*bpe)

s_waitcnt lgkmcnt(0)                               // lgkmcnt=0 vmcnt=-14wait for local read

_v_lshl_or_b32 v[vgprValuA_X15_I0+0], v105, 0x8, v[vgprValuA_X15_I0+0] // pack two int8 Vgpr to one half Vgpr
_v_lshl_or_b32 v106, v107, 0x8, v106               // pack two int8 Vgpr to one half Vgpr
v_or_b32 v[vgprValuA_X15_I0+0], v[vgprValuA_X15_I0+0], v106 // pack two half Vgpr to one Vgpr


/* tail loop mfma iter 15: numReadsIterCoalescedA=1, numReadsIterCoalescedB=1 */
v_and_b32 v105, 63, v[vgprSerial]                  // v105 = v[vgprSerial] % 64
v_lshrrev_b32 v105, 5, v105                        // v105 = v105 / 32
v_lshlrev_b32 v105, 0x2, v105                      // v105 = v105 * 4
v_cmp_ge_i32 s[34:35], v105, s[sgprLoopCounterL]   // check K index >= Size L
v_cndmask_b32 v[vgprValuB_X15_I0+0+0+0+0], v[vgprValuB_X15_I0+0+0+0+0], 0x0, s[34:35] // set 0 if K_idx >= sizeL
v_cndmask_b32 v[vgprValuB_X15_I0+1+0+0+0], v[vgprValuB_X15_I0+1+0+0+0], 0x0, s[34:35] // set 0 if K_idx >= sizeL
v_cndmask_b32 v[vgprValuB_X15_I0+2+0+0+0], v[vgprValuB_X15_I0+2+0+0+0], 0x0, s[34:35] // set 0 if K_idx >= sizeL
_v_sub_u32 v105, s[sgprLoopCounterL], v105         // get distance between size and k index
v_cmp_lt_i32 s[34:35], v105, 4                     // set partial 0 if distance less than input per thread
s_and_b32 s36, s[sgprLoopCounterL], 3              // get inputs for edge thread
s_sub_u32 s36, 4, s36                              // use shift to fill 0 for outside element
s_lshl_b32 s36, s36, 3                             // use shift to fill 0 for outside element
v_mov_b32 v106, -1                                 // set 0xffffffff
v_lshrrev_b32 v106, s36, v106                      // rshift mask for partial k
v_cndmask_b32 v106, -1, v106, s[34:35]             // select shifted mask for partial k
v_and_b32 v[vgprValuB_X15_I0+0+0+0+0], v[vgprValuB_X15_I0+0+0+0+0], v106 // 
v_and_b32 v[vgprValuB_X15_I0+1+0+0+0], v[vgprValuB_X15_I0+1+0+0+0], v106 // 
	;; [unrolled: 1-line block ×3, first 2 shown]
s_nop 1
v_mfma_i32_32x32x8i8 a[0+0:15+0], v[vgprValuA_X15_I0+0+0+0], v[vgprValuB_X15_I0+0+0+0], a[0:15]
v_mfma_i32_32x32x8i8 a[16+0:31+0], v[vgprValuA_X15_I0+0+0+0], v[vgprValuB_X15_I0+1+0+0], a[16:31]
	;; [unrolled: 1-line block ×3, first 2 shown]


/* closeLoop loopL finalLoop=1 tailLoop=1 */
s_sub_i32 s[sgprLoopCounterL], s[sgprLoopCounterL], 0x8 // dec counterL (tailLoop)
s_add_u32 s[sgprOrigLoopCounter], s[sgprOrigLoopCounter], 0x8 // inc counterL
s_cmp_le_i32 s[sgprLoopCounterL], 0x0              // counterL<=0
s_cbranch_scc0 TailLoopBeginL_6                    // restart LoopL
TailLoopEndL_7:

SkipTailLoopL_8:

Summation_End_30:
/* endSummation: add vgpr [0...102) to pool */
.set NumFullBlocks, UNDEF
.set WgmRemainder1, UNDEF
.set MagicNumberWgmRemainder1, UNDEF

/* Mapping of Acc register -> C Vgpr register */


/* shift vector components d0 */

/* check which macro tile need to shift */
v_mov_b32 v1, s[sgprWorkGroup0]                    // 
v_mul_i32_i24 v1, -0x80, v1                        // wg*MT
_v_add_co_u32 v1, vcc, s[sgprSizesFree+0], v1      // wgMT = Size - wg*MT
v_mov_b32 v2, 0x80                                 // MT
v_min_u32 v1, v2, v1                               // wgMT = (wgMT < MT) ? wgMT : MT

/* check which wave need to shift */
v_lshrrev_b32 v0, 6, v[vgprSerial]                 // v0 = v[vgprSerial] / 64
v_and_b32 v3, 3, v0                                // v3 = v0 % 4
v_lshrrev_b32 v0, 5, v1                            // v0 = v1 / 32
v_and_b32 v4, 3, v0                                // v4 = v0 % 4
v_cmp_eq_u32 s[34:35], v4, v3                      // wave_id == block_belong_to_wave?
v_cndmask_b32 v1, v2, v1, s[34:35]                 // wgMT = (wave_id == block_belong_to_wave) ? wgMT : MT

/* get id of which glvw block need to shift */
v_mul_i32_i24 v5, -0x20, v3                        // wg * MIB
_v_add_co_u32 v5, vcc, v5, v1                      // wgMT = Size - wg*MIB
v_lshrrev_b32 v5, 4, v5                            // glvw block id

/* dispatch to different shift block for shift */
v_and_b32 v6, 15, v1                               // v6 = v1 % 16
v_cmp_eq_u32 vcc, v6, 0x1                          // wgMT%GLVW == 1
s_cbranch_vccnz label_0031                         // branch to shift d0 r=1
v_cmp_eq_u32 vcc, v6, 0x2                          // wgMT%GLVW == 2
s_cbranch_vccnz label_0034                         // branch to shift d0 r=2
v_cmp_eq_u32 vcc, v6, 0x3                          // wgMT%GLVW == 3
s_cbranch_vccnz label_0037                         // branch to shift d0 r=3
v_cmp_eq_u32 vcc, v6, 0x4                          // wgMT%GLVW == 4
s_cbranch_vccnz label_0040                         // branch to shift d0 r=4
v_cmp_eq_u32 vcc, v6, 0x5                          // wgMT%GLVW == 5
s_cbranch_vccnz label_0043                         // branch to shift d0 r=5
v_cmp_eq_u32 vcc, v6, 0x6                          // wgMT%GLVW == 6
s_cbranch_vccnz label_0046                         // branch to shift d0 r=6
v_cmp_eq_u32 vcc, v6, 0x7                          // wgMT%GLVW == 7
s_cbranch_vccnz label_0049                         // branch to shift d0 r=7
v_cmp_eq_u32 vcc, v6, 0x8                          // wgMT%GLVW == 8
s_cbranch_vccnz label_0052                         // branch to shift d0 r=8
v_cmp_eq_u32 vcc, v6, 0x9                          // wgMT%GLVW == 9
s_cbranch_vccnz label_0055                         // branch to shift d0 r=9
v_cmp_eq_u32 vcc, v6, 0xa                          // wgMT%GLVW == 10
s_cbranch_vccnz label_0058                         // branch to shift d0 r=10
v_cmp_eq_u32 vcc, v6, 0xb                          // wgMT%GLVW == 11
s_cbranch_vccnz label_0061                         // branch to shift d0 r=11
v_cmp_eq_u32 vcc, v6, 0xc                          // wgMT%GLVW == 12
s_cbranch_vccnz label_0064                         // branch to shift d0 r=12
v_cmp_eq_u32 vcc, v6, 0xd                          // wgMT%GLVW == 13
s_cbranch_vccnz label_0067                         // branch to shift d0 r=13
v_cmp_eq_u32 vcc, v6, 0xe                          // wgMT%GLVW == 14
s_cbranch_vccnz label_0070                         // branch to shift d0 r=14
v_cmp_eq_u32 vcc, v6, 0xf                          // wgMT%GLVW == 15
s_cbranch_vccnz label_0073                         // branch to shift d0 r=15
s_branch label_0076                                // no shifting

/******************************************/
/* shift d0 shift=1                       */
/******************************************/
label_0031:
v_cmp_eq_u32 vcc, v5, 0x0                          // 
s_cbranch_vccnz label_0032                         // branch to shift d0 shift1 glvwblk0
v_cmp_eq_u32 vcc, v5, 0x1                          // 
s_cbranch_vccnz label_0033                         // branch to shift d0 shift1 glvwblk1

/******************************************/
/* shift d0 shift=2                       */
/******************************************/
label_0034:
v_cmp_eq_u32 vcc, v5, 0x0                          // 
s_cbranch_vccnz label_0035                         // branch to shift d0 shift2 glvwblk0
v_cmp_eq_u32 vcc, v5, 0x1                          // 
s_cbranch_vccnz label_0036                         // branch to shift d0 shift2 glvwblk1

/******************************************/
/* shift d0 shift=3                       */
/******************************************/
label_0037:
v_cmp_eq_u32 vcc, v5, 0x0                          // 
s_cbranch_vccnz label_0038                         // branch to shift d0 shift3 glvwblk0
v_cmp_eq_u32 vcc, v5, 0x1                          // 
s_cbranch_vccnz label_0039                         // branch to shift d0 shift3 glvwblk1

/******************************************/
/* shift d0 shift=4                       */
/******************************************/
label_0040:
v_cmp_eq_u32 vcc, v5, 0x0                          // 
s_cbranch_vccnz label_0041                         // branch to shift d0 shift4 glvwblk0
v_cmp_eq_u32 vcc, v5, 0x1                          // 
s_cbranch_vccnz label_0042                         // branch to shift d0 shift4 glvwblk1

/******************************************/
/* shift d0 shift=5                       */
/******************************************/
label_0043:
v_cmp_eq_u32 vcc, v5, 0x0                          // 
s_cbranch_vccnz label_0044                         // branch to shift d0 shift5 glvwblk0
v_cmp_eq_u32 vcc, v5, 0x1                          // 
s_cbranch_vccnz label_0045                         // branch to shift d0 shift5 glvwblk1

/******************************************/
/* shift d0 shift=6                       */
/******************************************/
label_0046:
v_cmp_eq_u32 vcc, v5, 0x0                          // 
s_cbranch_vccnz label_0047                         // branch to shift d0 shift6 glvwblk0
v_cmp_eq_u32 vcc, v5, 0x1                          // 
s_cbranch_vccnz label_0048                         // branch to shift d0 shift6 glvwblk1

/******************************************/
/* shift d0 shift=7                       */
/******************************************/
label_0049:
v_cmp_eq_u32 vcc, v5, 0x0                          // 
s_cbranch_vccnz label_0050                         // branch to shift d0 shift7 glvwblk0
v_cmp_eq_u32 vcc, v5, 0x1                          // 
s_cbranch_vccnz label_0051                         // branch to shift d0 shift7 glvwblk1

/******************************************/
/* shift d0 shift=8                       */
/******************************************/
label_0052:
v_cmp_eq_u32 vcc, v5, 0x0                          // 
s_cbranch_vccnz label_0053                         // branch to shift d0 shift8 glvwblk0
v_cmp_eq_u32 vcc, v5, 0x1                          // 
s_cbranch_vccnz label_0054                         // branch to shift d0 shift8 glvwblk1

/******************************************/
/* shift d0 shift=9                       */
/******************************************/
label_0055:
v_cmp_eq_u32 vcc, v5, 0x0                          // 
s_cbranch_vccnz label_0056                         // branch to shift d0 shift9 glvwblk0
v_cmp_eq_u32 vcc, v5, 0x1                          // 
s_cbranch_vccnz label_0057                         // branch to shift d0 shift9 glvwblk1

/******************************************/
/* shift d0 shift=10                      */
/******************************************/
label_0058:
v_cmp_eq_u32 vcc, v5, 0x0                          // 
s_cbranch_vccnz label_0059                         // branch to shift d0 shift10 glvwblk0
v_cmp_eq_u32 vcc, v5, 0x1                          // 
s_cbranch_vccnz label_0060                         // branch to shift d0 shift10 glvwblk1

/******************************************/
/* shift d0 shift=11                      */
/******************************************/
label_0061:
v_cmp_eq_u32 vcc, v5, 0x0                          // 
s_cbranch_vccnz label_0062                         // branch to shift d0 shift11 glvwblk0
v_cmp_eq_u32 vcc, v5, 0x1                          // 
s_cbranch_vccnz label_0063                         // branch to shift d0 shift11 glvwblk1

/******************************************/
/* shift d0 shift=12                      */
/******************************************/
label_0064:
v_cmp_eq_u32 vcc, v5, 0x0                          // 
s_cbranch_vccnz label_0065                         // branch to shift d0 shift12 glvwblk0
v_cmp_eq_u32 vcc, v5, 0x1                          // 
s_cbranch_vccnz label_0066                         // branch to shift d0 shift12 glvwblk1

/******************************************/
/* shift d0 shift=13                      */
/******************************************/
label_0067:
v_cmp_eq_u32 vcc, v5, 0x0                          // 
s_cbranch_vccnz label_0068                         // branch to shift d0 shift13 glvwblk0
v_cmp_eq_u32 vcc, v5, 0x1                          // 
s_cbranch_vccnz label_0069                         // branch to shift d0 shift13 glvwblk1

/******************************************/
/* shift d0 shift=14                      */
/******************************************/
label_0070:
v_cmp_eq_u32 vcc, v5, 0x0                          // 
s_cbranch_vccnz label_0071                         // branch to shift d0 shift14 glvwblk0
v_cmp_eq_u32 vcc, v5, 0x1                          // 
s_cbranch_vccnz label_0072                         // branch to shift d0 shift14 glvwblk1

/******************************************/
/* shift d0 shift=15                      */
/******************************************/
label_0073:
v_cmp_eq_u32 vcc, v5, 0x0                          // 
s_cbranch_vccnz label_0074                         // branch to shift d0 shift15 glvwblk0
v_cmp_eq_u32 vcc, v5, 0x1                          // 
s_cbranch_vccnz label_0075                         // branch to shift d0 shift15 glvwblk1

/******************************************/
/* Tony Reg 8-23                          */
/******************************************/

/******************************************/
/* shift d0 shift=1 glvwblk=0             */
/******************************************/
label_0032:
v_and_b32 v6, 63, v[vgprSerial]                    // permute register between threads
v_lshlrev_b32 v6, 0x2, v6                          // permute register between threads
v_lshrrev_b32 v0, 5, v[vgprSerial]                 // v0 = v[vgprSerial] / 32
v_and_b32 v7, 1, v0                                // v7 = v0 % 2
v_accvgpr_read_b32 v8, acc7                        // 
v_accvgpr_read_b32 v12, acc23                      // 
v_accvgpr_read_b32 v16, acc39                      // 
s_nop 1                                            // v_accvgpr read vgpr after write vgpr: 2 wait states
ds_bpermute_b32 v8, v6, v8, offset:128             // permute edge values
ds_bpermute_b32 v12, v6, v12, offset:128           // permute edge values
ds_bpermute_b32 v16, v6, v16, offset:128           // permute edge values
s_waitcnt lgkmcnt(0)                               // wait for swizzle operation
s_mov_b32 s34, 0                                   // which thread need to shfit in this block
_v_cmpx_eq_u32 s[34:35], v7, s34                   // is thread in edge glvw region
s_nop 3                                            // wait for exec mask
v_accvgpr_write_b32 acc0, v8                       // 
v_accvgpr_write_b32 acc16, v12                     // 
v_accvgpr_write_b32 acc32, v16                     // 
s_mov_b64 s[34:35], 0xFFFFFFFFFFFFFFFF             // to restore all threads active
s_or_saveexec_b64 vcc, s[34:35]                    // all threads active
s_nop 3                                            // wait for exec mask
s_branch label_0076                                // done

/******************************************/
/* shift d0 shift=1 glvwblk=1             */
/******************************************/
label_0033:
v_and_b32 v6, 63, v[vgprSerial]                    // permute register between threads
v_lshlrev_b32 v6, 0x2, v6                          // permute register between threads
v_lshrrev_b32 v0, 5, v[vgprSerial]                 // v0 = v[vgprSerial] / 32
v_and_b32 v7, 1, v0                                // v7 = v0 % 2
v_accvgpr_read_b32 v8, acc15                       // 
v_accvgpr_read_b32 v12, acc31                      // 
v_accvgpr_read_b32 v16, acc47                      // 
s_nop 1                                            // v_accvgpr read vgpr after write vgpr: 2 wait states
ds_bpermute_b32 v8, v6, v8, offset:128             // permute edge values
ds_bpermute_b32 v12, v6, v12, offset:128           // permute edge values
ds_bpermute_b32 v16, v6, v16, offset:128           // permute edge values
s_waitcnt lgkmcnt(0)                               // wait for swizzle operation
s_mov_b32 s34, 0                                   // which thread need to shfit in this block
_v_cmpx_eq_u32 s[34:35], v7, s34                   // is thread in edge glvw region
s_nop 3                                            // wait for exec mask
v_accvgpr_write_b32 acc8, v8                       // 
v_accvgpr_write_b32 acc24, v12                     // 
v_accvgpr_write_b32 acc40, v16                     // 
s_mov_b64 s[34:35], 0xFFFFFFFFFFFFFFFF             // to restore all threads active
s_or_saveexec_b64 vcc, s[34:35]                    // all threads active
s_nop 3                                            // wait for exec mask
s_branch label_0076                                // done

/******************************************/
/* shift d0 shift=2 glvwblk=0             */
/******************************************/
label_0035:
v_and_b32 v6, 63, v[vgprSerial]                    // permute register between threads
v_lshlrev_b32 v6, 0x2, v6                          // permute register between threads
v_lshrrev_b32 v0, 5, v[vgprSerial]                 // v0 = v[vgprSerial] / 32
v_and_b32 v7, 1, v0                                // v7 = v0 % 2
v_accvgpr_read_b32 v8, acc6                        // 
v_accvgpr_read_b32 v12, acc22                      // 
v_accvgpr_read_b32 v16, acc38                      // 
v_accvgpr_read_b32 v9, acc7                        // 
v_accvgpr_read_b32 v13, acc23                      // 
v_accvgpr_read_b32 v17, acc39                      // 
s_nop 1                                            // v_accvgpr read vgpr after write vgpr: 2 wait states
ds_bpermute_b32 v8, v6, v8, offset:128             // permute edge values
ds_bpermute_b32 v12, v6, v12, offset:128           // permute edge values
ds_bpermute_b32 v16, v6, v16, offset:128           // permute edge values
ds_bpermute_b32 v9, v6, v9, offset:128             // permute edge values
ds_bpermute_b32 v13, v6, v13, offset:128           // permute edge values
ds_bpermute_b32 v17, v6, v17, offset:128           // permute edge values
s_waitcnt lgkmcnt(0)                               // wait for swizzle operation
s_mov_b32 s34, 0                                   // which thread need to shfit in this block
_v_cmpx_eq_u32 s[34:35], v7, s34                   // is thread in edge glvw region
s_nop 3                                            // wait for exec mask
v_accvgpr_write_b32 acc0, v8                       // 
v_accvgpr_write_b32 acc16, v12                     // 
v_accvgpr_write_b32 acc32, v16                     // 
v_accvgpr_write_b32 acc1, v9                       // 
v_accvgpr_write_b32 acc17, v13                     // 
v_accvgpr_write_b32 acc33, v17                     // 
s_mov_b64 s[34:35], 0xFFFFFFFFFFFFFFFF             // to restore all threads active
s_or_saveexec_b64 vcc, s[34:35]                    // all threads active
s_nop 3                                            // wait for exec mask
s_branch label_0076                                // done

/******************************************/
/* shift d0 shift=2 glvwblk=1             */
/******************************************/
label_0036:
v_and_b32 v6, 63, v[vgprSerial]                    // permute register between threads
v_lshlrev_b32 v6, 0x2, v6                          // permute register between threads
v_lshrrev_b32 v0, 5, v[vgprSerial]                 // v0 = v[vgprSerial] / 32
v_and_b32 v7, 1, v0                                // v7 = v0 % 2
v_accvgpr_read_b32 v8, acc14                       // 
v_accvgpr_read_b32 v12, acc30                      // 
v_accvgpr_read_b32 v16, acc46                      // 
v_accvgpr_read_b32 v9, acc15                       // 
v_accvgpr_read_b32 v13, acc31                      // 
v_accvgpr_read_b32 v17, acc47                      // 
s_nop 1                                            // v_accvgpr read vgpr after write vgpr: 2 wait states
ds_bpermute_b32 v8, v6, v8, offset:128             // permute edge values
ds_bpermute_b32 v12, v6, v12, offset:128           // permute edge values
ds_bpermute_b32 v16, v6, v16, offset:128           // permute edge values
ds_bpermute_b32 v9, v6, v9, offset:128             // permute edge values
ds_bpermute_b32 v13, v6, v13, offset:128           // permute edge values
ds_bpermute_b32 v17, v6, v17, offset:128           // permute edge values
s_waitcnt lgkmcnt(0)                               // wait for swizzle operation
s_mov_b32 s34, 0                                   // which thread need to shfit in this block
_v_cmpx_eq_u32 s[34:35], v7, s34                   // is thread in edge glvw region
s_nop 3                                            // wait for exec mask
v_accvgpr_write_b32 acc8, v8                       // 
v_accvgpr_write_b32 acc24, v12                     // 
v_accvgpr_write_b32 acc40, v16                     // 
v_accvgpr_write_b32 acc9, v9                       // 
v_accvgpr_write_b32 acc25, v13                     // 
v_accvgpr_write_b32 acc41, v17                     // 
s_mov_b64 s[34:35], 0xFFFFFFFFFFFFFFFF             // to restore all threads active
s_or_saveexec_b64 vcc, s[34:35]                    // all threads active
s_nop 3                                            // wait for exec mask
s_branch label_0076                                // done

/******************************************/
/* shift d0 shift=3 glvwblk=0             */
/******************************************/
label_0038:
v_and_b32 v6, 63, v[vgprSerial]                    // permute register between threads
v_lshlrev_b32 v6, 0x2, v6                          // permute register between threads
v_lshrrev_b32 v0, 5, v[vgprSerial]                 // v0 = v[vgprSerial] / 32
v_and_b32 v7, 1, v0                                // v7 = v0 % 2
v_accvgpr_read_b32 v8, acc5                        // 
v_accvgpr_read_b32 v12, acc21                      // 
v_accvgpr_read_b32 v16, acc37                      // 
v_accvgpr_read_b32 v9, acc6                        // 
v_accvgpr_read_b32 v13, acc22                      // 
v_accvgpr_read_b32 v17, acc38                      // 
v_accvgpr_read_b32 v10, acc7                       // 
v_accvgpr_read_b32 v14, acc23                      // 
v_accvgpr_read_b32 v18, acc39                      // 
s_nop 1                                            // v_accvgpr read vgpr after write vgpr: 2 wait states
ds_bpermute_b32 v8, v6, v8, offset:128             // permute edge values
ds_bpermute_b32 v12, v6, v12, offset:128           // permute edge values
ds_bpermute_b32 v16, v6, v16, offset:128           // permute edge values
ds_bpermute_b32 v9, v6, v9, offset:128             // permute edge values
ds_bpermute_b32 v13, v6, v13, offset:128           // permute edge values
ds_bpermute_b32 v17, v6, v17, offset:128           // permute edge values
	;; [unrolled: 1-line block ×5, first 2 shown]
s_waitcnt lgkmcnt(0)                               // wait for swizzle operation
s_mov_b32 s34, 0                                   // which thread need to shfit in this block
_v_cmpx_eq_u32 s[34:35], v7, s34                   // is thread in edge glvw region
s_nop 3                                            // wait for exec mask
v_accvgpr_write_b32 acc0, v8                       // 
v_accvgpr_write_b32 acc16, v12                     // 
v_accvgpr_write_b32 acc32, v16                     // 
v_accvgpr_write_b32 acc1, v9                       // 
v_accvgpr_write_b32 acc17, v13                     // 
v_accvgpr_write_b32 acc33, v17                     // 
v_accvgpr_write_b32 acc2, v10                      // 
v_accvgpr_write_b32 acc18, v14                     // 
v_accvgpr_write_b32 acc34, v18                     // 
s_mov_b64 s[34:35], 0xFFFFFFFFFFFFFFFF             // to restore all threads active
s_or_saveexec_b64 vcc, s[34:35]                    // all threads active
s_nop 3                                            // wait for exec mask
s_branch label_0076                                // done

/******************************************/
/* shift d0 shift=3 glvwblk=1             */
/******************************************/
label_0039:
v_and_b32 v6, 63, v[vgprSerial]                    // permute register between threads
v_lshlrev_b32 v6, 0x2, v6                          // permute register between threads
v_lshrrev_b32 v0, 5, v[vgprSerial]                 // v0 = v[vgprSerial] / 32
v_and_b32 v7, 1, v0                                // v7 = v0 % 2
v_accvgpr_read_b32 v8, acc13                       // 
v_accvgpr_read_b32 v12, acc29                      // 
v_accvgpr_read_b32 v16, acc45                      // 
v_accvgpr_read_b32 v9, acc14                       // 
v_accvgpr_read_b32 v13, acc30                      // 
v_accvgpr_read_b32 v17, acc46                      // 
v_accvgpr_read_b32 v10, acc15                      // 
v_accvgpr_read_b32 v14, acc31                      // 
v_accvgpr_read_b32 v18, acc47                      // 
s_nop 1                                            // v_accvgpr read vgpr after write vgpr: 2 wait states
ds_bpermute_b32 v8, v6, v8, offset:128             // permute edge values
ds_bpermute_b32 v12, v6, v12, offset:128           // permute edge values
ds_bpermute_b32 v16, v6, v16, offset:128           // permute edge values
ds_bpermute_b32 v9, v6, v9, offset:128             // permute edge values
ds_bpermute_b32 v13, v6, v13, offset:128           // permute edge values
ds_bpermute_b32 v17, v6, v17, offset:128           // permute edge values
	;; [unrolled: 1-line block ×5, first 2 shown]
s_waitcnt lgkmcnt(0)                               // wait for swizzle operation
s_mov_b32 s34, 0                                   // which thread need to shfit in this block
_v_cmpx_eq_u32 s[34:35], v7, s34                   // is thread in edge glvw region
s_nop 3                                            // wait for exec mask
v_accvgpr_write_b32 acc8, v8                       // 
v_accvgpr_write_b32 acc24, v12                     // 
v_accvgpr_write_b32 acc40, v16                     // 
v_accvgpr_write_b32 acc9, v9                       // 
v_accvgpr_write_b32 acc25, v13                     // 
v_accvgpr_write_b32 acc41, v17                     // 
v_accvgpr_write_b32 acc10, v10                     // 
v_accvgpr_write_b32 acc26, v14                     // 
v_accvgpr_write_b32 acc42, v18                     // 
s_mov_b64 s[34:35], 0xFFFFFFFFFFFFFFFF             // to restore all threads active
s_or_saveexec_b64 vcc, s[34:35]                    // all threads active
s_nop 3                                            // wait for exec mask
s_branch label_0076                                // done

/******************************************/
/* shift d0 shift=4 glvwblk=0             */
/******************************************/
label_0041:
v_and_b32 v6, 63, v[vgprSerial]                    // permute register between threads
v_lshlrev_b32 v6, 0x2, v6                          // permute register between threads
v_lshrrev_b32 v0, 5, v[vgprSerial]                 // v0 = v[vgprSerial] / 32
v_and_b32 v7, 1, v0                                // v7 = v0 % 2
v_accvgpr_read_b32 v8, acc4                        // 
v_accvgpr_read_b32 v12, acc20                      // 
v_accvgpr_read_b32 v16, acc36                      // 
v_accvgpr_read_b32 v9, acc5                        // 
v_accvgpr_read_b32 v13, acc21                      // 
v_accvgpr_read_b32 v17, acc37                      // 
v_accvgpr_read_b32 v10, acc6                       // 
v_accvgpr_read_b32 v14, acc22                      // 
v_accvgpr_read_b32 v18, acc38                      // 
v_accvgpr_read_b32 v11, acc7                       // 
v_accvgpr_read_b32 v15, acc23                      // 
v_accvgpr_read_b32 v19, acc39                      // 
s_nop 1                                            // v_accvgpr read vgpr after write vgpr: 2 wait states
ds_bpermute_b32 v8, v6, v8, offset:128             // permute edge values
ds_bpermute_b32 v12, v6, v12, offset:128           // permute edge values
ds_bpermute_b32 v16, v6, v16, offset:128           // permute edge values
ds_bpermute_b32 v9, v6, v9, offset:128             // permute edge values
ds_bpermute_b32 v13, v6, v13, offset:128           // permute edge values
ds_bpermute_b32 v17, v6, v17, offset:128           // permute edge values
	;; [unrolled: 1-line block ×8, first 2 shown]
s_waitcnt lgkmcnt(0)                               // wait for swizzle operation
s_mov_b32 s34, 0                                   // which thread need to shfit in this block
_v_cmpx_eq_u32 s[34:35], v7, s34                   // is thread in edge glvw region
s_nop 3                                            // wait for exec mask
v_accvgpr_write_b32 acc0, v8                       // 
v_accvgpr_write_b32 acc16, v12                     // 
v_accvgpr_write_b32 acc32, v16                     // 
v_accvgpr_write_b32 acc1, v9                       // 
v_accvgpr_write_b32 acc17, v13                     // 
v_accvgpr_write_b32 acc33, v17                     // 
v_accvgpr_write_b32 acc2, v10                      // 
v_accvgpr_write_b32 acc18, v14                     // 
v_accvgpr_write_b32 acc34, v18                     // 
v_accvgpr_write_b32 acc3, v11                      // 
v_accvgpr_write_b32 acc19, v15                     // 
v_accvgpr_write_b32 acc35, v19                     // 
s_mov_b64 s[34:35], 0xFFFFFFFFFFFFFFFF             // to restore all threads active
s_or_saveexec_b64 vcc, s[34:35]                    // all threads active
s_nop 3                                            // wait for exec mask
s_branch label_0076                                // done

/******************************************/
/* shift d0 shift=4 glvwblk=1             */
/******************************************/
label_0042:
v_and_b32 v6, 63, v[vgprSerial]                    // permute register between threads
v_lshlrev_b32 v6, 0x2, v6                          // permute register between threads
v_lshrrev_b32 v0, 5, v[vgprSerial]                 // v0 = v[vgprSerial] / 32
v_and_b32 v7, 1, v0                                // v7 = v0 % 2
v_accvgpr_read_b32 v8, acc12                       // 
v_accvgpr_read_b32 v12, acc28                      // 
v_accvgpr_read_b32 v16, acc44                      // 
v_accvgpr_read_b32 v9, acc13                       // 
v_accvgpr_read_b32 v13, acc29                      // 
v_accvgpr_read_b32 v17, acc45                      // 
v_accvgpr_read_b32 v10, acc14                      // 
v_accvgpr_read_b32 v14, acc30                      // 
v_accvgpr_read_b32 v18, acc46                      // 
v_accvgpr_read_b32 v11, acc15                      // 
v_accvgpr_read_b32 v15, acc31                      // 
v_accvgpr_read_b32 v19, acc47                      // 
s_nop 1                                            // v_accvgpr read vgpr after write vgpr: 2 wait states
ds_bpermute_b32 v8, v6, v8, offset:128             // permute edge values
ds_bpermute_b32 v12, v6, v12, offset:128           // permute edge values
ds_bpermute_b32 v16, v6, v16, offset:128           // permute edge values
ds_bpermute_b32 v9, v6, v9, offset:128             // permute edge values
ds_bpermute_b32 v13, v6, v13, offset:128           // permute edge values
ds_bpermute_b32 v17, v6, v17, offset:128           // permute edge values
	;; [unrolled: 1-line block ×8, first 2 shown]
s_waitcnt lgkmcnt(0)                               // wait for swizzle operation
s_mov_b32 s34, 0                                   // which thread need to shfit in this block
_v_cmpx_eq_u32 s[34:35], v7, s34                   // is thread in edge glvw region
s_nop 3                                            // wait for exec mask
v_accvgpr_write_b32 acc8, v8                       // 
v_accvgpr_write_b32 acc24, v12                     // 
v_accvgpr_write_b32 acc40, v16                     // 
v_accvgpr_write_b32 acc9, v9                       // 
v_accvgpr_write_b32 acc25, v13                     // 
v_accvgpr_write_b32 acc41, v17                     // 
v_accvgpr_write_b32 acc10, v10                     // 
v_accvgpr_write_b32 acc26, v14                     // 
v_accvgpr_write_b32 acc42, v18                     // 
v_accvgpr_write_b32 acc11, v11                     // 
v_accvgpr_write_b32 acc27, v15                     // 
v_accvgpr_write_b32 acc43, v19                     // 
s_mov_b64 s[34:35], 0xFFFFFFFFFFFFFFFF             // to restore all threads active
s_or_saveexec_b64 vcc, s[34:35]                    // all threads active
s_nop 3                                            // wait for exec mask
s_branch label_0076                                // done

/******************************************/
/* shift d0 shift=5 glvwblk=0             */
/******************************************/
label_0044:
v_and_b32 v6, 63, v[vgprSerial]                    // permute register between threads
v_lshlrev_b32 v6, 0x2, v6                          // permute register between threads
v_lshrrev_b32 v0, 5, v[vgprSerial]                 // v0 = v[vgprSerial] / 32
v_and_b32 v7, 1, v0                                // v7 = v0 % 2
v_accvgpr_read_b32 v8, acc7                        // 
v_accvgpr_read_b32 v12, acc23                      // 
v_accvgpr_read_b32 v16, acc39                      // 
v_accvgpr_read_b32 v9, acc4                        // 
v_accvgpr_read_b32 v13, acc20                      // 
v_accvgpr_read_b32 v17, acc36                      // 
v_accvgpr_read_b32 v10, acc5                       // 
v_accvgpr_read_b32 v14, acc21                      // 
v_accvgpr_read_b32 v18, acc37                      // 
v_accvgpr_read_b32 v11, acc6                       // 
v_accvgpr_read_b32 v15, acc22                      // 
v_accvgpr_read_b32 v19, acc38                      // 
s_nop 1                                            // v_accvgpr read vgpr after write vgpr: 2 wait states
ds_bpermute_b32 v9, v6, v9, offset:128             // permute edge values
ds_bpermute_b32 v13, v6, v13, offset:128           // permute edge values
ds_bpermute_b32 v17, v6, v17, offset:128           // permute edge values
	;; [unrolled: 1-line block ×8, first 2 shown]
s_waitcnt lgkmcnt(0)                               // wait for swizzle operation
s_mov_b32 s34, 0                                   // which thread need to shfit in this block
_v_cmpx_eq_u32 s[34:35], v7, s34                   // is thread in edge glvw region
s_nop 3                                            // wait for exec mask
v_accvgpr_write_b32 acc0, v8                       // 
v_accvgpr_write_b32 acc16, v12                     // 
v_accvgpr_write_b32 acc32, v16                     // 
v_accvgpr_write_b32 acc1, v9                       // 
v_accvgpr_write_b32 acc17, v13                     // 
v_accvgpr_write_b32 acc33, v17                     // 
v_accvgpr_write_b32 acc2, v10                      // 
v_accvgpr_write_b32 acc18, v14                     // 
v_accvgpr_write_b32 acc34, v18                     // 
v_accvgpr_write_b32 acc3, v11                      // 
v_accvgpr_write_b32 acc19, v15                     // 
v_accvgpr_write_b32 acc35, v19                     // 
s_mov_b64 s[34:35], 0xFFFFFFFFFFFFFFFF             // to restore all threads active
s_or_saveexec_b64 vcc, s[34:35]                    // all threads active
s_nop 3                                            // wait for exec mask
v_accvgpr_read_b32 v8, acc7                        // 
v_accvgpr_read_b32 v12, acc23                      // 
v_accvgpr_read_b32 v16, acc39                      // 
s_nop 1                                            // v_accvgpr read vgpr after write vgpr: 2 wait states
s_mov_b32 s34, 1                                   // which thread need to shfit in this block
_v_cmpx_eq_u32 s[34:35], v7, s34                   // is thread in edge glvw region
s_nop 3                                            // wait for exec mask
v_accvgpr_write_b32 acc0, v8                       // 
v_accvgpr_write_b32 acc16, v12                     // 
v_accvgpr_write_b32 acc32, v16                     // 
s_mov_b64 s[34:35], 0xFFFFFFFFFFFFFFFF             // to restore all threads active
s_or_saveexec_b64 vcc, s[34:35]                    // all threads active
s_nop 3                                            // wait for exec mask
s_branch label_0076                                // done

/******************************************/
/* shift d0 shift=5 glvwblk=1             */
/******************************************/
label_0045:
v_and_b32 v6, 63, v[vgprSerial]                    // permute register between threads
v_lshlrev_b32 v6, 0x2, v6                          // permute register between threads
v_lshrrev_b32 v0, 5, v[vgprSerial]                 // v0 = v[vgprSerial] / 32
v_and_b32 v7, 1, v0                                // v7 = v0 % 2
v_accvgpr_read_b32 v8, acc15                       // 
v_accvgpr_read_b32 v12, acc31                      // 
v_accvgpr_read_b32 v16, acc47                      // 
v_accvgpr_read_b32 v9, acc12                       // 
v_accvgpr_read_b32 v13, acc28                      // 
v_accvgpr_read_b32 v17, acc44                      // 
v_accvgpr_read_b32 v10, acc13                      // 
v_accvgpr_read_b32 v14, acc29                      // 
v_accvgpr_read_b32 v18, acc45                      // 
v_accvgpr_read_b32 v11, acc14                      // 
v_accvgpr_read_b32 v15, acc30                      // 
v_accvgpr_read_b32 v19, acc46                      // 
s_nop 1                                            // v_accvgpr read vgpr after write vgpr: 2 wait states
ds_bpermute_b32 v9, v6, v9, offset:128             // permute edge values
ds_bpermute_b32 v13, v6, v13, offset:128           // permute edge values
ds_bpermute_b32 v17, v6, v17, offset:128           // permute edge values
	;; [unrolled: 1-line block ×8, first 2 shown]
s_waitcnt lgkmcnt(0)                               // wait for swizzle operation
s_mov_b32 s34, 0                                   // which thread need to shfit in this block
_v_cmpx_eq_u32 s[34:35], v7, s34                   // is thread in edge glvw region
s_nop 3                                            // wait for exec mask
v_accvgpr_write_b32 acc8, v8                       // 
v_accvgpr_write_b32 acc24, v12                     // 
v_accvgpr_write_b32 acc40, v16                     // 
v_accvgpr_write_b32 acc9, v9                       // 
v_accvgpr_write_b32 acc25, v13                     // 
v_accvgpr_write_b32 acc41, v17                     // 
v_accvgpr_write_b32 acc10, v10                     // 
v_accvgpr_write_b32 acc26, v14                     // 
v_accvgpr_write_b32 acc42, v18                     // 
v_accvgpr_write_b32 acc11, v11                     // 
v_accvgpr_write_b32 acc27, v15                     // 
v_accvgpr_write_b32 acc43, v19                     // 
s_mov_b64 s[34:35], 0xFFFFFFFFFFFFFFFF             // to restore all threads active
s_or_saveexec_b64 vcc, s[34:35]                    // all threads active
s_nop 3                                            // wait for exec mask
v_accvgpr_read_b32 v8, acc15                       // 
v_accvgpr_read_b32 v12, acc31                      // 
v_accvgpr_read_b32 v16, acc47                      // 
s_nop 1                                            // v_accvgpr read vgpr after write vgpr: 2 wait states
s_mov_b32 s34, 1                                   // which thread need to shfit in this block
_v_cmpx_eq_u32 s[34:35], v7, s34                   // is thread in edge glvw region
s_nop 3                                            // wait for exec mask
v_accvgpr_write_b32 acc8, v8                       // 
v_accvgpr_write_b32 acc24, v12                     // 
v_accvgpr_write_b32 acc40, v16                     // 
s_mov_b64 s[34:35], 0xFFFFFFFFFFFFFFFF             // to restore all threads active
s_or_saveexec_b64 vcc, s[34:35]                    // all threads active
s_nop 3                                            // wait for exec mask
s_branch label_0076                                // done

/******************************************/
/* shift d0 shift=6 glvwblk=0             */
/******************************************/
label_0047:
v_and_b32 v6, 63, v[vgprSerial]                    // permute register between threads
v_lshlrev_b32 v6, 0x2, v6                          // permute register between threads
v_lshrrev_b32 v0, 5, v[vgprSerial]                 // v0 = v[vgprSerial] / 32
v_and_b32 v7, 1, v0                                // v7 = v0 % 2
v_accvgpr_read_b32 v8, acc6                        // 
v_accvgpr_read_b32 v12, acc22                      // 
v_accvgpr_read_b32 v16, acc38                      // 
v_accvgpr_read_b32 v9, acc7                        // 
v_accvgpr_read_b32 v13, acc23                      // 
v_accvgpr_read_b32 v17, acc39                      // 
v_accvgpr_read_b32 v10, acc4                       // 
v_accvgpr_read_b32 v14, acc20                      // 
v_accvgpr_read_b32 v18, acc36                      // 
v_accvgpr_read_b32 v11, acc5                       // 
v_accvgpr_read_b32 v15, acc21                      // 
v_accvgpr_read_b32 v19, acc37                      // 
s_nop 1                                            // v_accvgpr read vgpr after write vgpr: 2 wait states
ds_bpermute_b32 v10, v6, v10, offset:128           // permute edge values
ds_bpermute_b32 v14, v6, v14, offset:128           // permute edge values
	;; [unrolled: 1-line block ×6, first 2 shown]
s_waitcnt lgkmcnt(0)                               // wait for swizzle operation
s_mov_b32 s34, 0                                   // which thread need to shfit in this block
_v_cmpx_eq_u32 s[34:35], v7, s34                   // is thread in edge glvw region
s_nop 3                                            // wait for exec mask
v_accvgpr_write_b32 acc0, v8                       // 
v_accvgpr_write_b32 acc16, v12                     // 
v_accvgpr_write_b32 acc32, v16                     // 
v_accvgpr_write_b32 acc1, v9                       // 
v_accvgpr_write_b32 acc17, v13                     // 
v_accvgpr_write_b32 acc33, v17                     // 
v_accvgpr_write_b32 acc2, v10                      // 
v_accvgpr_write_b32 acc18, v14                     // 
v_accvgpr_write_b32 acc34, v18                     // 
v_accvgpr_write_b32 acc3, v11                      // 
v_accvgpr_write_b32 acc19, v15                     // 
v_accvgpr_write_b32 acc35, v19                     // 
s_mov_b64 s[34:35], 0xFFFFFFFFFFFFFFFF             // to restore all threads active
s_or_saveexec_b64 vcc, s[34:35]                    // all threads active
s_nop 3                                            // wait for exec mask
v_accvgpr_read_b32 v8, acc6                        // 
v_accvgpr_read_b32 v12, acc22                      // 
v_accvgpr_read_b32 v16, acc38                      // 
v_accvgpr_read_b32 v9, acc7                        // 
v_accvgpr_read_b32 v13, acc23                      // 
v_accvgpr_read_b32 v17, acc39                      // 
s_nop 1                                            // v_accvgpr read vgpr after write vgpr: 2 wait states
s_mov_b32 s34, 1                                   // which thread need to shfit in this block
_v_cmpx_eq_u32 s[34:35], v7, s34                   // is thread in edge glvw region
s_nop 3                                            // wait for exec mask
v_accvgpr_write_b32 acc0, v8                       // 
v_accvgpr_write_b32 acc16, v12                     // 
v_accvgpr_write_b32 acc32, v16                     // 
v_accvgpr_write_b32 acc1, v9                       // 
v_accvgpr_write_b32 acc17, v13                     // 
v_accvgpr_write_b32 acc33, v17                     // 
s_mov_b64 s[34:35], 0xFFFFFFFFFFFFFFFF             // to restore all threads active
s_or_saveexec_b64 vcc, s[34:35]                    // all threads active
s_nop 3                                            // wait for exec mask
s_branch label_0076                                // done

/******************************************/
/* shift d0 shift=6 glvwblk=1             */
/******************************************/
label_0048:
v_and_b32 v6, 63, v[vgprSerial]                    // permute register between threads
v_lshlrev_b32 v6, 0x2, v6                          // permute register between threads
v_lshrrev_b32 v0, 5, v[vgprSerial]                 // v0 = v[vgprSerial] / 32
v_and_b32 v7, 1, v0                                // v7 = v0 % 2
v_accvgpr_read_b32 v8, acc14                       // 
v_accvgpr_read_b32 v12, acc30                      // 
v_accvgpr_read_b32 v16, acc46                      // 
v_accvgpr_read_b32 v9, acc15                       // 
v_accvgpr_read_b32 v13, acc31                      // 
v_accvgpr_read_b32 v17, acc47                      // 
v_accvgpr_read_b32 v10, acc12                      // 
v_accvgpr_read_b32 v14, acc28                      // 
v_accvgpr_read_b32 v18, acc44                      // 
v_accvgpr_read_b32 v11, acc13                      // 
v_accvgpr_read_b32 v15, acc29                      // 
v_accvgpr_read_b32 v19, acc45                      // 
s_nop 1                                            // v_accvgpr read vgpr after write vgpr: 2 wait states
ds_bpermute_b32 v10, v6, v10, offset:128           // permute edge values
ds_bpermute_b32 v14, v6, v14, offset:128           // permute edge values
ds_bpermute_b32 v18, v6, v18, offset:128           // permute edge values
ds_bpermute_b32 v11, v6, v11, offset:128           // permute edge values
ds_bpermute_b32 v15, v6, v15, offset:128           // permute edge values
ds_bpermute_b32 v19, v6, v19, offset:128           // permute edge values
s_waitcnt lgkmcnt(0)                               // wait for swizzle operation
s_mov_b32 s34, 0                                   // which thread need to shfit in this block
_v_cmpx_eq_u32 s[34:35], v7, s34                   // is thread in edge glvw region
s_nop 3                                            // wait for exec mask
v_accvgpr_write_b32 acc8, v8                       // 
v_accvgpr_write_b32 acc24, v12                     // 
v_accvgpr_write_b32 acc40, v16                     // 
v_accvgpr_write_b32 acc9, v9                       // 
v_accvgpr_write_b32 acc25, v13                     // 
v_accvgpr_write_b32 acc41, v17                     // 
v_accvgpr_write_b32 acc10, v10                     // 
v_accvgpr_write_b32 acc26, v14                     // 
v_accvgpr_write_b32 acc42, v18                     // 
v_accvgpr_write_b32 acc11, v11                     // 
v_accvgpr_write_b32 acc27, v15                     // 
v_accvgpr_write_b32 acc43, v19                     // 
s_mov_b64 s[34:35], 0xFFFFFFFFFFFFFFFF             // to restore all threads active
s_or_saveexec_b64 vcc, s[34:35]                    // all threads active
s_nop 3                                            // wait for exec mask
v_accvgpr_read_b32 v8, acc14                       // 
v_accvgpr_read_b32 v12, acc30                      // 
v_accvgpr_read_b32 v16, acc46                      // 
v_accvgpr_read_b32 v9, acc15                       // 
v_accvgpr_read_b32 v13, acc31                      // 
v_accvgpr_read_b32 v17, acc47                      // 
s_nop 1                                            // v_accvgpr read vgpr after write vgpr: 2 wait states
s_mov_b32 s34, 1                                   // which thread need to shfit in this block
_v_cmpx_eq_u32 s[34:35], v7, s34                   // is thread in edge glvw region
s_nop 3                                            // wait for exec mask
v_accvgpr_write_b32 acc8, v8                       // 
v_accvgpr_write_b32 acc24, v12                     // 
v_accvgpr_write_b32 acc40, v16                     // 
v_accvgpr_write_b32 acc9, v9                       // 
v_accvgpr_write_b32 acc25, v13                     // 
v_accvgpr_write_b32 acc41, v17                     // 
s_mov_b64 s[34:35], 0xFFFFFFFFFFFFFFFF             // to restore all threads active
s_or_saveexec_b64 vcc, s[34:35]                    // all threads active
s_nop 3                                            // wait for exec mask
s_branch label_0076                                // done

/******************************************/
/* shift d0 shift=7 glvwblk=0             */
/******************************************/
label_0050:
v_and_b32 v6, 63, v[vgprSerial]                    // permute register between threads
v_lshlrev_b32 v6, 0x2, v6                          // permute register between threads
v_lshrrev_b32 v0, 5, v[vgprSerial]                 // v0 = v[vgprSerial] / 32
v_and_b32 v7, 1, v0                                // v7 = v0 % 2
v_accvgpr_read_b32 v8, acc5                        // 
v_accvgpr_read_b32 v12, acc21                      // 
v_accvgpr_read_b32 v16, acc37                      // 
v_accvgpr_read_b32 v9, acc6                        // 
v_accvgpr_read_b32 v13, acc22                      // 
v_accvgpr_read_b32 v17, acc38                      // 
v_accvgpr_read_b32 v10, acc7                       // 
v_accvgpr_read_b32 v14, acc23                      // 
v_accvgpr_read_b32 v18, acc39                      // 
v_accvgpr_read_b32 v11, acc4                       // 
v_accvgpr_read_b32 v15, acc20                      // 
v_accvgpr_read_b32 v19, acc36                      // 
s_nop 1                                            // v_accvgpr read vgpr after write vgpr: 2 wait states
ds_bpermute_b32 v11, v6, v11, offset:128           // permute edge values
ds_bpermute_b32 v15, v6, v15, offset:128           // permute edge values
	;; [unrolled: 1-line block ×3, first 2 shown]
s_waitcnt lgkmcnt(0)                               // wait for swizzle operation
s_mov_b32 s34, 0                                   // which thread need to shfit in this block
_v_cmpx_eq_u32 s[34:35], v7, s34                   // is thread in edge glvw region
s_nop 3                                            // wait for exec mask
v_accvgpr_write_b32 acc0, v8                       // 
v_accvgpr_write_b32 acc16, v12                     // 
v_accvgpr_write_b32 acc32, v16                     // 
v_accvgpr_write_b32 acc1, v9                       // 
v_accvgpr_write_b32 acc17, v13                     // 
v_accvgpr_write_b32 acc33, v17                     // 
v_accvgpr_write_b32 acc2, v10                      // 
v_accvgpr_write_b32 acc18, v14                     // 
v_accvgpr_write_b32 acc34, v18                     // 
v_accvgpr_write_b32 acc3, v11                      // 
v_accvgpr_write_b32 acc19, v15                     // 
v_accvgpr_write_b32 acc35, v19                     // 
s_mov_b64 s[34:35], 0xFFFFFFFFFFFFFFFF             // to restore all threads active
s_or_saveexec_b64 vcc, s[34:35]                    // all threads active
s_nop 3                                            // wait for exec mask
v_accvgpr_read_b32 v8, acc5                        // 
v_accvgpr_read_b32 v12, acc21                      // 
v_accvgpr_read_b32 v16, acc37                      // 
v_accvgpr_read_b32 v9, acc6                        // 
v_accvgpr_read_b32 v13, acc22                      // 
v_accvgpr_read_b32 v17, acc38                      // 
v_accvgpr_read_b32 v10, acc7                       // 
v_accvgpr_read_b32 v14, acc23                      // 
v_accvgpr_read_b32 v18, acc39                      // 
s_nop 1                                            // v_accvgpr read vgpr after write vgpr: 2 wait states
s_mov_b32 s34, 1                                   // which thread need to shfit in this block
_v_cmpx_eq_u32 s[34:35], v7, s34                   // is thread in edge glvw region
s_nop 3                                            // wait for exec mask
v_accvgpr_write_b32 acc0, v8                       // 
v_accvgpr_write_b32 acc16, v12                     // 
v_accvgpr_write_b32 acc32, v16                     // 
v_accvgpr_write_b32 acc1, v9                       // 
v_accvgpr_write_b32 acc17, v13                     // 
v_accvgpr_write_b32 acc33, v17                     // 
v_accvgpr_write_b32 acc2, v10                      // 
v_accvgpr_write_b32 acc18, v14                     // 
v_accvgpr_write_b32 acc34, v18                     // 
s_mov_b64 s[34:35], 0xFFFFFFFFFFFFFFFF             // to restore all threads active
s_or_saveexec_b64 vcc, s[34:35]                    // all threads active
s_nop 3                                            // wait for exec mask
s_branch label_0076                                // done

/******************************************/
/* shift d0 shift=7 glvwblk=1             */
/******************************************/
label_0051:
v_and_b32 v6, 63, v[vgprSerial]                    // permute register between threads
v_lshlrev_b32 v6, 0x2, v6                          // permute register between threads
v_lshrrev_b32 v0, 5, v[vgprSerial]                 // v0 = v[vgprSerial] / 32
v_and_b32 v7, 1, v0                                // v7 = v0 % 2
v_accvgpr_read_b32 v8, acc13                       // 
v_accvgpr_read_b32 v12, acc29                      // 
v_accvgpr_read_b32 v16, acc45                      // 
v_accvgpr_read_b32 v9, acc14                       // 
v_accvgpr_read_b32 v13, acc30                      // 
v_accvgpr_read_b32 v17, acc46                      // 
v_accvgpr_read_b32 v10, acc15                      // 
v_accvgpr_read_b32 v14, acc31                      // 
v_accvgpr_read_b32 v18, acc47                      // 
v_accvgpr_read_b32 v11, acc12                      // 
v_accvgpr_read_b32 v15, acc28                      // 
v_accvgpr_read_b32 v19, acc44                      // 
s_nop 1                                            // v_accvgpr read vgpr after write vgpr: 2 wait states
ds_bpermute_b32 v11, v6, v11, offset:128           // permute edge values
ds_bpermute_b32 v15, v6, v15, offset:128           // permute edge values
ds_bpermute_b32 v19, v6, v19, offset:128           // permute edge values
s_waitcnt lgkmcnt(0)                               // wait for swizzle operation
s_mov_b32 s34, 0                                   // which thread need to shfit in this block
_v_cmpx_eq_u32 s[34:35], v7, s34                   // is thread in edge glvw region
s_nop 3                                            // wait for exec mask
v_accvgpr_write_b32 acc8, v8                       // 
v_accvgpr_write_b32 acc24, v12                     // 
v_accvgpr_write_b32 acc40, v16                     // 
v_accvgpr_write_b32 acc9, v9                       // 
v_accvgpr_write_b32 acc25, v13                     // 
v_accvgpr_write_b32 acc41, v17                     // 
v_accvgpr_write_b32 acc10, v10                     // 
v_accvgpr_write_b32 acc26, v14                     // 
v_accvgpr_write_b32 acc42, v18                     // 
v_accvgpr_write_b32 acc11, v11                     // 
v_accvgpr_write_b32 acc27, v15                     // 
v_accvgpr_write_b32 acc43, v19                     // 
s_mov_b64 s[34:35], 0xFFFFFFFFFFFFFFFF             // to restore all threads active
s_or_saveexec_b64 vcc, s[34:35]                    // all threads active
s_nop 3                                            // wait for exec mask
v_accvgpr_read_b32 v8, acc13                       // 
v_accvgpr_read_b32 v12, acc29                      // 
v_accvgpr_read_b32 v16, acc45                      // 
v_accvgpr_read_b32 v9, acc14                       // 
v_accvgpr_read_b32 v13, acc30                      // 
v_accvgpr_read_b32 v17, acc46                      // 
v_accvgpr_read_b32 v10, acc15                      // 
v_accvgpr_read_b32 v14, acc31                      // 
v_accvgpr_read_b32 v18, acc47                      // 
s_nop 1                                            // v_accvgpr read vgpr after write vgpr: 2 wait states
s_mov_b32 s34, 1                                   // which thread need to shfit in this block
_v_cmpx_eq_u32 s[34:35], v7, s34                   // is thread in edge glvw region
s_nop 3                                            // wait for exec mask
v_accvgpr_write_b32 acc8, v8                       // 
v_accvgpr_write_b32 acc24, v12                     // 
v_accvgpr_write_b32 acc40, v16                     // 
v_accvgpr_write_b32 acc9, v9                       // 
v_accvgpr_write_b32 acc25, v13                     // 
v_accvgpr_write_b32 acc41, v17                     // 
v_accvgpr_write_b32 acc10, v10                     // 
v_accvgpr_write_b32 acc26, v14                     // 
v_accvgpr_write_b32 acc42, v18                     // 
s_mov_b64 s[34:35], 0xFFFFFFFFFFFFFFFF             // to restore all threads active
s_or_saveexec_b64 vcc, s[34:35]                    // all threads active
s_nop 3                                            // wait for exec mask
s_branch label_0076                                // done

/******************************************/
/* shift d0 shift=8 glvwblk=0             */
/******************************************/
label_0053:
v_and_b32 v6, 63, v[vgprSerial]                    // permute register between threads
v_lshlrev_b32 v6, 0x2, v6                          // permute register between threads
v_lshrrev_b32 v0, 5, v[vgprSerial]                 // v0 = v[vgprSerial] / 32
v_and_b32 v7, 1, v0                                // v7 = v0 % 2
v_accvgpr_read_b32 v8, acc4                        // 
v_accvgpr_read_b32 v12, acc20                      // 
v_accvgpr_read_b32 v16, acc36                      // 
v_accvgpr_read_b32 v9, acc5                        // 
v_accvgpr_read_b32 v13, acc21                      // 
v_accvgpr_read_b32 v17, acc37                      // 
v_accvgpr_read_b32 v10, acc6                       // 
v_accvgpr_read_b32 v14, acc22                      // 
v_accvgpr_read_b32 v18, acc38                      // 
v_accvgpr_read_b32 v11, acc7                       // 
v_accvgpr_read_b32 v15, acc23                      // 
v_accvgpr_read_b32 v19, acc39                      // 
s_nop 1                                            // v_accvgpr read vgpr after write vgpr: 2 wait states
s_mov_b32 s34, 0                                   // which thread need to shfit in this block
_v_cmpx_eq_u32 s[34:35], v7, s34                   // is thread in edge glvw region
s_nop 3                                            // wait for exec mask
v_accvgpr_write_b32 acc0, v8                       // 
v_accvgpr_write_b32 acc16, v12                     // 
v_accvgpr_write_b32 acc32, v16                     // 
v_accvgpr_write_b32 acc1, v9                       // 
v_accvgpr_write_b32 acc17, v13                     // 
v_accvgpr_write_b32 acc33, v17                     // 
v_accvgpr_write_b32 acc2, v10                      // 
v_accvgpr_write_b32 acc18, v14                     // 
v_accvgpr_write_b32 acc34, v18                     // 
v_accvgpr_write_b32 acc3, v11                      // 
v_accvgpr_write_b32 acc19, v15                     // 
v_accvgpr_write_b32 acc35, v19                     // 
s_mov_b64 s[34:35], 0xFFFFFFFFFFFFFFFF             // to restore all threads active
s_or_saveexec_b64 vcc, s[34:35]                    // all threads active
s_nop 3                                            // wait for exec mask
v_accvgpr_read_b32 v8, acc4                        // 
v_accvgpr_read_b32 v12, acc20                      // 
v_accvgpr_read_b32 v16, acc36                      // 
v_accvgpr_read_b32 v9, acc5                        // 
v_accvgpr_read_b32 v13, acc21                      // 
v_accvgpr_read_b32 v17, acc37                      // 
v_accvgpr_read_b32 v10, acc6                       // 
v_accvgpr_read_b32 v14, acc22                      // 
v_accvgpr_read_b32 v18, acc38                      // 
v_accvgpr_read_b32 v11, acc7                       // 
v_accvgpr_read_b32 v15, acc23                      // 
v_accvgpr_read_b32 v19, acc39                      // 
s_nop 1                                            // v_accvgpr read vgpr after write vgpr: 2 wait states
s_mov_b32 s34, 1                                   // which thread need to shfit in this block
_v_cmpx_eq_u32 s[34:35], v7, s34                   // is thread in edge glvw region
s_nop 3                                            // wait for exec mask
v_accvgpr_write_b32 acc0, v8                       // 
v_accvgpr_write_b32 acc16, v12                     // 
v_accvgpr_write_b32 acc32, v16                     // 
v_accvgpr_write_b32 acc1, v9                       // 
v_accvgpr_write_b32 acc17, v13                     // 
v_accvgpr_write_b32 acc33, v17                     // 
v_accvgpr_write_b32 acc2, v10                      // 
v_accvgpr_write_b32 acc18, v14                     // 
v_accvgpr_write_b32 acc34, v18                     // 
v_accvgpr_write_b32 acc3, v11                      // 
v_accvgpr_write_b32 acc19, v15                     // 
v_accvgpr_write_b32 acc35, v19                     // 
s_mov_b64 s[34:35], 0xFFFFFFFFFFFFFFFF             // to restore all threads active
s_or_saveexec_b64 vcc, s[34:35]                    // all threads active
s_nop 3                                            // wait for exec mask
s_branch label_0076                                // done

/******************************************/
/* shift d0 shift=8 glvwblk=1             */
/******************************************/
label_0054:
v_and_b32 v6, 63, v[vgprSerial]                    // permute register between threads
v_lshlrev_b32 v6, 0x2, v6                          // permute register between threads
v_lshrrev_b32 v0, 5, v[vgprSerial]                 // v0 = v[vgprSerial] / 32
v_and_b32 v7, 1, v0                                // v7 = v0 % 2
v_accvgpr_read_b32 v8, acc12                       // 
v_accvgpr_read_b32 v12, acc28                      // 
v_accvgpr_read_b32 v16, acc44                      // 
v_accvgpr_read_b32 v9, acc13                       // 
v_accvgpr_read_b32 v13, acc29                      // 
v_accvgpr_read_b32 v17, acc45                      // 
v_accvgpr_read_b32 v10, acc14                      // 
v_accvgpr_read_b32 v14, acc30                      // 
v_accvgpr_read_b32 v18, acc46                      // 
v_accvgpr_read_b32 v11, acc15                      // 
v_accvgpr_read_b32 v15, acc31                      // 
v_accvgpr_read_b32 v19, acc47                      // 
s_nop 1                                            // v_accvgpr read vgpr after write vgpr: 2 wait states
s_mov_b32 s34, 0                                   // which thread need to shfit in this block
_v_cmpx_eq_u32 s[34:35], v7, s34                   // is thread in edge glvw region
s_nop 3                                            // wait for exec mask
v_accvgpr_write_b32 acc8, v8                       // 
v_accvgpr_write_b32 acc24, v12                     // 
v_accvgpr_write_b32 acc40, v16                     // 
v_accvgpr_write_b32 acc9, v9                       // 
v_accvgpr_write_b32 acc25, v13                     // 
v_accvgpr_write_b32 acc41, v17                     // 
v_accvgpr_write_b32 acc10, v10                     // 
v_accvgpr_write_b32 acc26, v14                     // 
v_accvgpr_write_b32 acc42, v18                     // 
v_accvgpr_write_b32 acc11, v11                     // 
v_accvgpr_write_b32 acc27, v15                     // 
v_accvgpr_write_b32 acc43, v19                     // 
s_mov_b64 s[34:35], 0xFFFFFFFFFFFFFFFF             // to restore all threads active
s_or_saveexec_b64 vcc, s[34:35]                    // all threads active
s_nop 3                                            // wait for exec mask
v_accvgpr_read_b32 v8, acc12                       // 
v_accvgpr_read_b32 v12, acc28                      // 
v_accvgpr_read_b32 v16, acc44                      // 
v_accvgpr_read_b32 v9, acc13                       // 
v_accvgpr_read_b32 v13, acc29                      // 
v_accvgpr_read_b32 v17, acc45                      // 
v_accvgpr_read_b32 v10, acc14                      // 
v_accvgpr_read_b32 v14, acc30                      // 
v_accvgpr_read_b32 v18, acc46                      // 
v_accvgpr_read_b32 v11, acc15                      // 
v_accvgpr_read_b32 v15, acc31                      // 
v_accvgpr_read_b32 v19, acc47                      // 
s_nop 1                                            // v_accvgpr read vgpr after write vgpr: 2 wait states
s_mov_b32 s34, 1                                   // which thread need to shfit in this block
_v_cmpx_eq_u32 s[34:35], v7, s34                   // is thread in edge glvw region
s_nop 3                                            // wait for exec mask
v_accvgpr_write_b32 acc8, v8                       // 
v_accvgpr_write_b32 acc24, v12                     // 
v_accvgpr_write_b32 acc40, v16                     // 
v_accvgpr_write_b32 acc9, v9                       // 
v_accvgpr_write_b32 acc25, v13                     // 
v_accvgpr_write_b32 acc41, v17                     // 
v_accvgpr_write_b32 acc10, v10                     // 
v_accvgpr_write_b32 acc26, v14                     // 
v_accvgpr_write_b32 acc42, v18                     // 
v_accvgpr_write_b32 acc11, v11                     // 
v_accvgpr_write_b32 acc27, v15                     // 
v_accvgpr_write_b32 acc43, v19                     // 
s_mov_b64 s[34:35], 0xFFFFFFFFFFFFFFFF             // to restore all threads active
s_or_saveexec_b64 vcc, s[34:35]                    // all threads active
s_nop 3                                            // wait for exec mask
s_branch label_0076                                // done

/******************************************/
/* shift d0 shift=9 glvwblk=0             */
/******************************************/
label_0056:
v_and_b32 v6, 63, v[vgprSerial]                    // permute register between threads
v_lshlrev_b32 v6, 0x2, v6                          // permute register between threads
v_lshrrev_b32 v0, 5, v[vgprSerial]                 // v0 = v[vgprSerial] / 32
v_and_b32 v7, 1, v0                                // v7 = v0 % 2
v_accvgpr_read_b32 v8, acc3                        // 
v_accvgpr_read_b32 v12, acc19                      // 
v_accvgpr_read_b32 v16, acc35                      // 
v_accvgpr_read_b32 v9, acc4                        // 
v_accvgpr_read_b32 v13, acc20                      // 
v_accvgpr_read_b32 v17, acc36                      // 
v_accvgpr_read_b32 v10, acc5                       // 
v_accvgpr_read_b32 v14, acc21                      // 
v_accvgpr_read_b32 v18, acc37                      // 
v_accvgpr_read_b32 v11, acc6                       // 
v_accvgpr_read_b32 v15, acc22                      // 
v_accvgpr_read_b32 v19, acc38                      // 
s_nop 1                                            // v_accvgpr read vgpr after write vgpr: 2 wait states
ds_bpermute_b32 v8, v6, v8, offset:128             // permute edge values
ds_bpermute_b32 v12, v6, v12, offset:128           // permute edge values
ds_bpermute_b32 v16, v6, v16, offset:128           // permute edge values
s_waitcnt lgkmcnt(0)                               // wait for swizzle operation
s_mov_b32 s34, 0                                   // which thread need to shfit in this block
_v_cmpx_eq_u32 s[34:35], v7, s34                   // is thread in edge glvw region
s_nop 3                                            // wait for exec mask
v_accvgpr_write_b32 acc0, v8                       // 
v_accvgpr_write_b32 acc16, v12                     // 
v_accvgpr_write_b32 acc32, v16                     // 
v_accvgpr_write_b32 acc1, v9                       // 
v_accvgpr_write_b32 acc17, v13                     // 
v_accvgpr_write_b32 acc33, v17                     // 
v_accvgpr_write_b32 acc2, v10                      // 
v_accvgpr_write_b32 acc18, v14                     // 
v_accvgpr_write_b32 acc34, v18                     // 
v_accvgpr_write_b32 acc3, v11                      // 
v_accvgpr_write_b32 acc19, v15                     // 
v_accvgpr_write_b32 acc35, v19                     // 
s_mov_b64 s[34:35], 0xFFFFFFFFFFFFFFFF             // to restore all threads active
s_or_saveexec_b64 vcc, s[34:35]                    // all threads active
s_nop 3                                            // wait for exec mask
v_accvgpr_read_b32 v8, acc7                        // 
v_accvgpr_read_b32 v12, acc23                      // 
v_accvgpr_read_b32 v16, acc39                      // 
v_accvgpr_read_b32 v9, acc4                        // 
v_accvgpr_read_b32 v13, acc20                      // 
v_accvgpr_read_b32 v17, acc36                      // 
v_accvgpr_read_b32 v10, acc5                       // 
v_accvgpr_read_b32 v14, acc21                      // 
v_accvgpr_read_b32 v18, acc37                      // 
v_accvgpr_read_b32 v11, acc6                       // 
v_accvgpr_read_b32 v15, acc22                      // 
v_accvgpr_read_b32 v19, acc38                      // 
s_nop 1                                            // v_accvgpr read vgpr after write vgpr: 2 wait states
ds_bpermute_b32 v8, v6, v8, offset:128             // permute edge values
ds_bpermute_b32 v12, v6, v12, offset:128           // permute edge values
ds_bpermute_b32 v16, v6, v16, offset:128           // permute edge values
s_waitcnt lgkmcnt(0)                               // wait for swizzle operation
s_mov_b32 s34, 1                                   // which thread need to shfit in this block
_v_cmpx_eq_u32 s[34:35], v7, s34                   // is thread in edge glvw region
s_nop 3                                            // wait for exec mask
v_accvgpr_write_b32 acc0, v8                       // 
v_accvgpr_write_b32 acc16, v12                     // 
v_accvgpr_write_b32 acc32, v16                     // 
v_accvgpr_write_b32 acc1, v9                       // 
v_accvgpr_write_b32 acc17, v13                     // 
v_accvgpr_write_b32 acc33, v17                     // 
v_accvgpr_write_b32 acc2, v10                      // 
v_accvgpr_write_b32 acc18, v14                     // 
v_accvgpr_write_b32 acc34, v18                     // 
v_accvgpr_write_b32 acc3, v11                      // 
v_accvgpr_write_b32 acc19, v15                     // 
v_accvgpr_write_b32 acc35, v19                     // 
s_mov_b64 s[34:35], 0xFFFFFFFFFFFFFFFF             // to restore all threads active
s_or_saveexec_b64 vcc, s[34:35]                    // all threads active
s_nop 3                                            // wait for exec mask
v_accvgpr_read_b32 v8, acc7                        // 
v_accvgpr_read_b32 v12, acc23                      // 
v_accvgpr_read_b32 v16, acc39                      // 
s_nop 1                                            // v_accvgpr read vgpr after write vgpr: 2 wait states
ds_bpermute_b32 v8, v6, v8, offset:128             // permute edge values
ds_bpermute_b32 v12, v6, v12, offset:128           // permute edge values
ds_bpermute_b32 v16, v6, v16, offset:128           // permute edge values
s_waitcnt lgkmcnt(0)                               // wait for swizzle operation
s_mov_b32 s34, 0                                   // which thread need to shfit in this block
_v_cmpx_eq_u32 s[34:35], v7, s34                   // is thread in edge glvw region
s_nop 3                                            // wait for exec mask
v_accvgpr_write_b32 acc4, v8                       // 
v_accvgpr_write_b32 acc20, v12                     // 
v_accvgpr_write_b32 acc36, v16                     // 
s_mov_b64 s[34:35], 0xFFFFFFFFFFFFFFFF             // to restore all threads active
s_or_saveexec_b64 vcc, s[34:35]                    // all threads active
s_nop 3                                            // wait for exec mask
s_branch label_0076                                // done

/******************************************/
/* shift d0 shift=9 glvwblk=1             */
/******************************************/
label_0057:
v_and_b32 v6, 63, v[vgprSerial]                    // permute register between threads
v_lshlrev_b32 v6, 0x2, v6                          // permute register between threads
v_lshrrev_b32 v0, 5, v[vgprSerial]                 // v0 = v[vgprSerial] / 32
v_and_b32 v7, 1, v0                                // v7 = v0 % 2
v_accvgpr_read_b32 v8, acc11                       // 
v_accvgpr_read_b32 v12, acc27                      // 
v_accvgpr_read_b32 v16, acc43                      // 
v_accvgpr_read_b32 v9, acc12                       // 
v_accvgpr_read_b32 v13, acc28                      // 
v_accvgpr_read_b32 v17, acc44                      // 
v_accvgpr_read_b32 v10, acc13                      // 
v_accvgpr_read_b32 v14, acc29                      // 
v_accvgpr_read_b32 v18, acc45                      // 
v_accvgpr_read_b32 v11, acc14                      // 
v_accvgpr_read_b32 v15, acc30                      // 
v_accvgpr_read_b32 v19, acc46                      // 
s_nop 1                                            // v_accvgpr read vgpr after write vgpr: 2 wait states
ds_bpermute_b32 v8, v6, v8, offset:128             // permute edge values
ds_bpermute_b32 v12, v6, v12, offset:128           // permute edge values
ds_bpermute_b32 v16, v6, v16, offset:128           // permute edge values
s_waitcnt lgkmcnt(0)                               // wait for swizzle operation
s_mov_b32 s34, 0                                   // which thread need to shfit in this block
_v_cmpx_eq_u32 s[34:35], v7, s34                   // is thread in edge glvw region
s_nop 3                                            // wait for exec mask
v_accvgpr_write_b32 acc8, v8                       // 
v_accvgpr_write_b32 acc24, v12                     // 
v_accvgpr_write_b32 acc40, v16                     // 
v_accvgpr_write_b32 acc9, v9                       // 
v_accvgpr_write_b32 acc25, v13                     // 
v_accvgpr_write_b32 acc41, v17                     // 
v_accvgpr_write_b32 acc10, v10                     // 
v_accvgpr_write_b32 acc26, v14                     // 
v_accvgpr_write_b32 acc42, v18                     // 
v_accvgpr_write_b32 acc11, v11                     // 
v_accvgpr_write_b32 acc27, v15                     // 
v_accvgpr_write_b32 acc43, v19                     // 
s_mov_b64 s[34:35], 0xFFFFFFFFFFFFFFFF             // to restore all threads active
s_or_saveexec_b64 vcc, s[34:35]                    // all threads active
s_nop 3                                            // wait for exec mask
v_accvgpr_read_b32 v8, acc15                       // 
v_accvgpr_read_b32 v12, acc31                      // 
v_accvgpr_read_b32 v16, acc47                      // 
v_accvgpr_read_b32 v9, acc12                       // 
v_accvgpr_read_b32 v13, acc28                      // 
v_accvgpr_read_b32 v17, acc44                      // 
v_accvgpr_read_b32 v10, acc13                      // 
v_accvgpr_read_b32 v14, acc29                      // 
v_accvgpr_read_b32 v18, acc45                      // 
v_accvgpr_read_b32 v11, acc14                      // 
v_accvgpr_read_b32 v15, acc30                      // 
v_accvgpr_read_b32 v19, acc46                      // 
s_nop 1                                            // v_accvgpr read vgpr after write vgpr: 2 wait states
ds_bpermute_b32 v8, v6, v8, offset:128             // permute edge values
ds_bpermute_b32 v12, v6, v12, offset:128           // permute edge values
ds_bpermute_b32 v16, v6, v16, offset:128           // permute edge values
s_waitcnt lgkmcnt(0)                               // wait for swizzle operation
s_mov_b32 s34, 1                                   // which thread need to shfit in this block
_v_cmpx_eq_u32 s[34:35], v7, s34                   // is thread in edge glvw region
s_nop 3                                            // wait for exec mask
v_accvgpr_write_b32 acc8, v8                       // 
v_accvgpr_write_b32 acc24, v12                     // 
v_accvgpr_write_b32 acc40, v16                     // 
v_accvgpr_write_b32 acc9, v9                       // 
v_accvgpr_write_b32 acc25, v13                     // 
v_accvgpr_write_b32 acc41, v17                     // 
v_accvgpr_write_b32 acc10, v10                     // 
v_accvgpr_write_b32 acc26, v14                     // 
v_accvgpr_write_b32 acc42, v18                     // 
v_accvgpr_write_b32 acc11, v11                     // 
v_accvgpr_write_b32 acc27, v15                     // 
v_accvgpr_write_b32 acc43, v19                     // 
s_mov_b64 s[34:35], 0xFFFFFFFFFFFFFFFF             // to restore all threads active
s_or_saveexec_b64 vcc, s[34:35]                    // all threads active
s_nop 3                                            // wait for exec mask
v_accvgpr_read_b32 v8, acc15                       // 
v_accvgpr_read_b32 v12, acc31                      // 
v_accvgpr_read_b32 v16, acc47                      // 
s_nop 1                                            // v_accvgpr read vgpr after write vgpr: 2 wait states
ds_bpermute_b32 v8, v6, v8, offset:128             // permute edge values
ds_bpermute_b32 v12, v6, v12, offset:128           // permute edge values
ds_bpermute_b32 v16, v6, v16, offset:128           // permute edge values
s_waitcnt lgkmcnt(0)                               // wait for swizzle operation
s_mov_b32 s34, 0                                   // which thread need to shfit in this block
_v_cmpx_eq_u32 s[34:35], v7, s34                   // is thread in edge glvw region
s_nop 3                                            // wait for exec mask
v_accvgpr_write_b32 acc12, v8                      // 
v_accvgpr_write_b32 acc28, v12                     // 
v_accvgpr_write_b32 acc44, v16                     // 
s_mov_b64 s[34:35], 0xFFFFFFFFFFFFFFFF             // to restore all threads active
s_or_saveexec_b64 vcc, s[34:35]                    // all threads active
s_nop 3                                            // wait for exec mask
s_branch label_0076                                // done

/******************************************/
/* shift d0 shift=10 glvwblk=0            */
/******************************************/
label_0059:
v_and_b32 v6, 63, v[vgprSerial]                    // permute register between threads
v_lshlrev_b32 v6, 0x2, v6                          // permute register between threads
v_lshrrev_b32 v0, 5, v[vgprSerial]                 // v0 = v[vgprSerial] / 32
v_and_b32 v7, 1, v0                                // v7 = v0 % 2
v_accvgpr_read_b32 v8, acc2                        // 
v_accvgpr_read_b32 v12, acc18                      // 
v_accvgpr_read_b32 v16, acc34                      // 
v_accvgpr_read_b32 v9, acc3                        // 
v_accvgpr_read_b32 v13, acc19                      // 
v_accvgpr_read_b32 v17, acc35                      // 
v_accvgpr_read_b32 v10, acc4                       // 
v_accvgpr_read_b32 v14, acc20                      // 
v_accvgpr_read_b32 v18, acc36                      // 
v_accvgpr_read_b32 v11, acc5                       // 
v_accvgpr_read_b32 v15, acc21                      // 
v_accvgpr_read_b32 v19, acc37                      // 
s_nop 1                                            // v_accvgpr read vgpr after write vgpr: 2 wait states
ds_bpermute_b32 v8, v6, v8, offset:128             // permute edge values
ds_bpermute_b32 v12, v6, v12, offset:128           // permute edge values
ds_bpermute_b32 v16, v6, v16, offset:128           // permute edge values
ds_bpermute_b32 v9, v6, v9, offset:128             // permute edge values
ds_bpermute_b32 v13, v6, v13, offset:128           // permute edge values
ds_bpermute_b32 v17, v6, v17, offset:128           // permute edge values
s_waitcnt lgkmcnt(0)                               // wait for swizzle operation
s_mov_b32 s34, 0                                   // which thread need to shfit in this block
_v_cmpx_eq_u32 s[34:35], v7, s34                   // is thread in edge glvw region
s_nop 3                                            // wait for exec mask
v_accvgpr_write_b32 acc0, v8                       // 
v_accvgpr_write_b32 acc16, v12                     // 
v_accvgpr_write_b32 acc32, v16                     // 
v_accvgpr_write_b32 acc1, v9                       // 
v_accvgpr_write_b32 acc17, v13                     // 
v_accvgpr_write_b32 acc33, v17                     // 
v_accvgpr_write_b32 acc2, v10                      // 
v_accvgpr_write_b32 acc18, v14                     // 
v_accvgpr_write_b32 acc34, v18                     // 
v_accvgpr_write_b32 acc3, v11                      // 
v_accvgpr_write_b32 acc19, v15                     // 
v_accvgpr_write_b32 acc35, v19                     // 
s_mov_b64 s[34:35], 0xFFFFFFFFFFFFFFFF             // to restore all threads active
s_or_saveexec_b64 vcc, s[34:35]                    // all threads active
s_nop 3                                            // wait for exec mask
v_accvgpr_read_b32 v8, acc6                        // 
v_accvgpr_read_b32 v12, acc22                      // 
v_accvgpr_read_b32 v16, acc38                      // 
v_accvgpr_read_b32 v9, acc7                        // 
v_accvgpr_read_b32 v13, acc23                      // 
v_accvgpr_read_b32 v17, acc39                      // 
v_accvgpr_read_b32 v10, acc4                       // 
v_accvgpr_read_b32 v14, acc20                      // 
v_accvgpr_read_b32 v18, acc36                      // 
v_accvgpr_read_b32 v11, acc5                       // 
v_accvgpr_read_b32 v15, acc21                      // 
v_accvgpr_read_b32 v19, acc37                      // 
s_nop 1                                            // v_accvgpr read vgpr after write vgpr: 2 wait states
ds_bpermute_b32 v8, v6, v8, offset:128             // permute edge values
ds_bpermute_b32 v12, v6, v12, offset:128           // permute edge values
ds_bpermute_b32 v16, v6, v16, offset:128           // permute edge values
ds_bpermute_b32 v9, v6, v9, offset:128             // permute edge values
ds_bpermute_b32 v13, v6, v13, offset:128           // permute edge values
ds_bpermute_b32 v17, v6, v17, offset:128           // permute edge values
s_waitcnt lgkmcnt(0)                               // wait for swizzle operation
s_mov_b32 s34, 1                                   // which thread need to shfit in this block
_v_cmpx_eq_u32 s[34:35], v7, s34                   // is thread in edge glvw region
s_nop 3                                            // wait for exec mask
v_accvgpr_write_b32 acc0, v8                       // 
v_accvgpr_write_b32 acc16, v12                     // 
v_accvgpr_write_b32 acc32, v16                     // 
v_accvgpr_write_b32 acc1, v9                       // 
v_accvgpr_write_b32 acc17, v13                     // 
v_accvgpr_write_b32 acc33, v17                     // 
v_accvgpr_write_b32 acc2, v10                      // 
v_accvgpr_write_b32 acc18, v14                     // 
v_accvgpr_write_b32 acc34, v18                     // 
v_accvgpr_write_b32 acc3, v11                      // 
v_accvgpr_write_b32 acc19, v15                     // 
v_accvgpr_write_b32 acc35, v19                     // 
s_mov_b64 s[34:35], 0xFFFFFFFFFFFFFFFF             // to restore all threads active
s_or_saveexec_b64 vcc, s[34:35]                    // all threads active
s_nop 3                                            // wait for exec mask
v_accvgpr_read_b32 v8, acc6                        // 
v_accvgpr_read_b32 v12, acc22                      // 
v_accvgpr_read_b32 v16, acc38                      // 
v_accvgpr_read_b32 v9, acc7                        // 
v_accvgpr_read_b32 v13, acc23                      // 
v_accvgpr_read_b32 v17, acc39                      // 
s_nop 1                                            // v_accvgpr read vgpr after write vgpr: 2 wait states
ds_bpermute_b32 v8, v6, v8, offset:128             // permute edge values
ds_bpermute_b32 v12, v6, v12, offset:128           // permute edge values
ds_bpermute_b32 v16, v6, v16, offset:128           // permute edge values
ds_bpermute_b32 v9, v6, v9, offset:128             // permute edge values
ds_bpermute_b32 v13, v6, v13, offset:128           // permute edge values
ds_bpermute_b32 v17, v6, v17, offset:128           // permute edge values
s_waitcnt lgkmcnt(0)                               // wait for swizzle operation
s_mov_b32 s34, 0                                   // which thread need to shfit in this block
_v_cmpx_eq_u32 s[34:35], v7, s34                   // is thread in edge glvw region
s_nop 3                                            // wait for exec mask
v_accvgpr_write_b32 acc4, v8                       // 
v_accvgpr_write_b32 acc20, v12                     // 
v_accvgpr_write_b32 acc36, v16                     // 
v_accvgpr_write_b32 acc5, v9                       // 
v_accvgpr_write_b32 acc21, v13                     // 
v_accvgpr_write_b32 acc37, v17                     // 
s_mov_b64 s[34:35], 0xFFFFFFFFFFFFFFFF             // to restore all threads active
s_or_saveexec_b64 vcc, s[34:35]                    // all threads active
s_nop 3                                            // wait for exec mask
s_branch label_0076                                // done

/******************************************/
/* shift d0 shift=10 glvwblk=1            */
/******************************************/
label_0060:
v_and_b32 v6, 63, v[vgprSerial]                    // permute register between threads
v_lshlrev_b32 v6, 0x2, v6                          // permute register between threads
v_lshrrev_b32 v0, 5, v[vgprSerial]                 // v0 = v[vgprSerial] / 32
v_and_b32 v7, 1, v0                                // v7 = v0 % 2
v_accvgpr_read_b32 v8, acc10                       // 
v_accvgpr_read_b32 v12, acc26                      // 
v_accvgpr_read_b32 v16, acc42                      // 
v_accvgpr_read_b32 v9, acc11                       // 
v_accvgpr_read_b32 v13, acc27                      // 
v_accvgpr_read_b32 v17, acc43                      // 
v_accvgpr_read_b32 v10, acc12                      // 
v_accvgpr_read_b32 v14, acc28                      // 
v_accvgpr_read_b32 v18, acc44                      // 
v_accvgpr_read_b32 v11, acc13                      // 
v_accvgpr_read_b32 v15, acc29                      // 
v_accvgpr_read_b32 v19, acc45                      // 
s_nop 1                                            // v_accvgpr read vgpr after write vgpr: 2 wait states
ds_bpermute_b32 v8, v6, v8, offset:128             // permute edge values
ds_bpermute_b32 v12, v6, v12, offset:128           // permute edge values
ds_bpermute_b32 v16, v6, v16, offset:128           // permute edge values
ds_bpermute_b32 v9, v6, v9, offset:128             // permute edge values
ds_bpermute_b32 v13, v6, v13, offset:128           // permute edge values
ds_bpermute_b32 v17, v6, v17, offset:128           // permute edge values
s_waitcnt lgkmcnt(0)                               // wait for swizzle operation
s_mov_b32 s34, 0                                   // which thread need to shfit in this block
_v_cmpx_eq_u32 s[34:35], v7, s34                   // is thread in edge glvw region
s_nop 3                                            // wait for exec mask
v_accvgpr_write_b32 acc8, v8                       // 
v_accvgpr_write_b32 acc24, v12                     // 
v_accvgpr_write_b32 acc40, v16                     // 
v_accvgpr_write_b32 acc9, v9                       // 
v_accvgpr_write_b32 acc25, v13                     // 
v_accvgpr_write_b32 acc41, v17                     // 
v_accvgpr_write_b32 acc10, v10                     // 
v_accvgpr_write_b32 acc26, v14                     // 
v_accvgpr_write_b32 acc42, v18                     // 
v_accvgpr_write_b32 acc11, v11                     // 
v_accvgpr_write_b32 acc27, v15                     // 
v_accvgpr_write_b32 acc43, v19                     // 
s_mov_b64 s[34:35], 0xFFFFFFFFFFFFFFFF             // to restore all threads active
s_or_saveexec_b64 vcc, s[34:35]                    // all threads active
s_nop 3                                            // wait for exec mask
v_accvgpr_read_b32 v8, acc14                       // 
v_accvgpr_read_b32 v12, acc30                      // 
v_accvgpr_read_b32 v16, acc46                      // 
v_accvgpr_read_b32 v9, acc15                       // 
v_accvgpr_read_b32 v13, acc31                      // 
v_accvgpr_read_b32 v17, acc47                      // 
v_accvgpr_read_b32 v10, acc12                      // 
v_accvgpr_read_b32 v14, acc28                      // 
v_accvgpr_read_b32 v18, acc44                      // 
v_accvgpr_read_b32 v11, acc13                      // 
v_accvgpr_read_b32 v15, acc29                      // 
v_accvgpr_read_b32 v19, acc45                      // 
s_nop 1                                            // v_accvgpr read vgpr after write vgpr: 2 wait states
ds_bpermute_b32 v8, v6, v8, offset:128             // permute edge values
ds_bpermute_b32 v12, v6, v12, offset:128           // permute edge values
ds_bpermute_b32 v16, v6, v16, offset:128           // permute edge values
ds_bpermute_b32 v9, v6, v9, offset:128             // permute edge values
ds_bpermute_b32 v13, v6, v13, offset:128           // permute edge values
ds_bpermute_b32 v17, v6, v17, offset:128           // permute edge values
s_waitcnt lgkmcnt(0)                               // wait for swizzle operation
s_mov_b32 s34, 1                                   // which thread need to shfit in this block
_v_cmpx_eq_u32 s[34:35], v7, s34                   // is thread in edge glvw region
s_nop 3                                            // wait for exec mask
v_accvgpr_write_b32 acc8, v8                       // 
v_accvgpr_write_b32 acc24, v12                     // 
v_accvgpr_write_b32 acc40, v16                     // 
v_accvgpr_write_b32 acc9, v9                       // 
v_accvgpr_write_b32 acc25, v13                     // 
v_accvgpr_write_b32 acc41, v17                     // 
v_accvgpr_write_b32 acc10, v10                     // 
v_accvgpr_write_b32 acc26, v14                     // 
v_accvgpr_write_b32 acc42, v18                     // 
v_accvgpr_write_b32 acc11, v11                     // 
v_accvgpr_write_b32 acc27, v15                     // 
v_accvgpr_write_b32 acc43, v19                     // 
s_mov_b64 s[34:35], 0xFFFFFFFFFFFFFFFF             // to restore all threads active
s_or_saveexec_b64 vcc, s[34:35]                    // all threads active
s_nop 3                                            // wait for exec mask
v_accvgpr_read_b32 v8, acc14                       // 
v_accvgpr_read_b32 v12, acc30                      // 
v_accvgpr_read_b32 v16, acc46                      // 
v_accvgpr_read_b32 v9, acc15                       // 
v_accvgpr_read_b32 v13, acc31                      // 
v_accvgpr_read_b32 v17, acc47                      // 
s_nop 1                                            // v_accvgpr read vgpr after write vgpr: 2 wait states
ds_bpermute_b32 v8, v6, v8, offset:128             // permute edge values
ds_bpermute_b32 v12, v6, v12, offset:128           // permute edge values
ds_bpermute_b32 v16, v6, v16, offset:128           // permute edge values
ds_bpermute_b32 v9, v6, v9, offset:128             // permute edge values
ds_bpermute_b32 v13, v6, v13, offset:128           // permute edge values
ds_bpermute_b32 v17, v6, v17, offset:128           // permute edge values
s_waitcnt lgkmcnt(0)                               // wait for swizzle operation
s_mov_b32 s34, 0                                   // which thread need to shfit in this block
_v_cmpx_eq_u32 s[34:35], v7, s34                   // is thread in edge glvw region
s_nop 3                                            // wait for exec mask
v_accvgpr_write_b32 acc12, v8                      // 
v_accvgpr_write_b32 acc28, v12                     // 
v_accvgpr_write_b32 acc44, v16                     // 
v_accvgpr_write_b32 acc13, v9                      // 
v_accvgpr_write_b32 acc29, v13                     // 
v_accvgpr_write_b32 acc45, v17                     // 
s_mov_b64 s[34:35], 0xFFFFFFFFFFFFFFFF             // to restore all threads active
s_or_saveexec_b64 vcc, s[34:35]                    // all threads active
s_nop 3                                            // wait for exec mask
s_branch label_0076                                // done

/******************************************/
/* shift d0 shift=11 glvwblk=0            */
/******************************************/
label_0062:
v_and_b32 v6, 63, v[vgprSerial]                    // permute register between threads
v_lshlrev_b32 v6, 0x2, v6                          // permute register between threads
v_lshrrev_b32 v0, 5, v[vgprSerial]                 // v0 = v[vgprSerial] / 32
v_and_b32 v7, 1, v0                                // v7 = v0 % 2
v_accvgpr_read_b32 v8, acc1                        // 
v_accvgpr_read_b32 v12, acc17                      // 
v_accvgpr_read_b32 v16, acc33                      // 
v_accvgpr_read_b32 v9, acc2                        // 
v_accvgpr_read_b32 v13, acc18                      // 
v_accvgpr_read_b32 v17, acc34                      // 
v_accvgpr_read_b32 v10, acc3                       // 
v_accvgpr_read_b32 v14, acc19                      // 
v_accvgpr_read_b32 v18, acc35                      // 
v_accvgpr_read_b32 v11, acc4                       // 
v_accvgpr_read_b32 v15, acc20                      // 
v_accvgpr_read_b32 v19, acc36                      // 
s_nop 1                                            // v_accvgpr read vgpr after write vgpr: 2 wait states
ds_bpermute_b32 v8, v6, v8, offset:128             // permute edge values
ds_bpermute_b32 v12, v6, v12, offset:128           // permute edge values
ds_bpermute_b32 v16, v6, v16, offset:128           // permute edge values
ds_bpermute_b32 v9, v6, v9, offset:128             // permute edge values
ds_bpermute_b32 v13, v6, v13, offset:128           // permute edge values
ds_bpermute_b32 v17, v6, v17, offset:128           // permute edge values
	;; [unrolled: 1-line block ×5, first 2 shown]
s_waitcnt lgkmcnt(0)                               // wait for swizzle operation
s_mov_b32 s34, 0                                   // which thread need to shfit in this block
_v_cmpx_eq_u32 s[34:35], v7, s34                   // is thread in edge glvw region
s_nop 3                                            // wait for exec mask
v_accvgpr_write_b32 acc0, v8                       // 
v_accvgpr_write_b32 acc16, v12                     // 
v_accvgpr_write_b32 acc32, v16                     // 
v_accvgpr_write_b32 acc1, v9                       // 
v_accvgpr_write_b32 acc17, v13                     // 
v_accvgpr_write_b32 acc33, v17                     // 
v_accvgpr_write_b32 acc2, v10                      // 
v_accvgpr_write_b32 acc18, v14                     // 
v_accvgpr_write_b32 acc34, v18                     // 
v_accvgpr_write_b32 acc3, v11                      // 
v_accvgpr_write_b32 acc19, v15                     // 
v_accvgpr_write_b32 acc35, v19                     // 
s_mov_b64 s[34:35], 0xFFFFFFFFFFFFFFFF             // to restore all threads active
s_or_saveexec_b64 vcc, s[34:35]                    // all threads active
s_nop 3                                            // wait for exec mask
v_accvgpr_read_b32 v8, acc5                        // 
v_accvgpr_read_b32 v12, acc21                      // 
v_accvgpr_read_b32 v16, acc37                      // 
v_accvgpr_read_b32 v9, acc6                        // 
v_accvgpr_read_b32 v13, acc22                      // 
v_accvgpr_read_b32 v17, acc38                      // 
v_accvgpr_read_b32 v10, acc7                       // 
v_accvgpr_read_b32 v14, acc23                      // 
v_accvgpr_read_b32 v18, acc39                      // 
v_accvgpr_read_b32 v11, acc4                       // 
v_accvgpr_read_b32 v15, acc20                      // 
v_accvgpr_read_b32 v19, acc36                      // 
s_nop 1                                            // v_accvgpr read vgpr after write vgpr: 2 wait states
ds_bpermute_b32 v8, v6, v8, offset:128             // permute edge values
ds_bpermute_b32 v12, v6, v12, offset:128           // permute edge values
ds_bpermute_b32 v16, v6, v16, offset:128           // permute edge values
ds_bpermute_b32 v9, v6, v9, offset:128             // permute edge values
ds_bpermute_b32 v13, v6, v13, offset:128           // permute edge values
ds_bpermute_b32 v17, v6, v17, offset:128           // permute edge values
ds_bpermute_b32 v10, v6, v10, offset:128           // permute edge values
ds_bpermute_b32 v14, v6, v14, offset:128           // permute edge values
ds_bpermute_b32 v18, v6, v18, offset:128           // permute edge values
s_waitcnt lgkmcnt(0)                               // wait for swizzle operation
s_mov_b32 s34, 1                                   // which thread need to shfit in this block
_v_cmpx_eq_u32 s[34:35], v7, s34                   // is thread in edge glvw region
s_nop 3                                            // wait for exec mask
v_accvgpr_write_b32 acc0, v8                       // 
v_accvgpr_write_b32 acc16, v12                     // 
v_accvgpr_write_b32 acc32, v16                     // 
v_accvgpr_write_b32 acc1, v9                       // 
v_accvgpr_write_b32 acc17, v13                     // 
v_accvgpr_write_b32 acc33, v17                     // 
v_accvgpr_write_b32 acc2, v10                      // 
v_accvgpr_write_b32 acc18, v14                     // 
v_accvgpr_write_b32 acc34, v18                     // 
v_accvgpr_write_b32 acc3, v11                      // 
v_accvgpr_write_b32 acc19, v15                     // 
v_accvgpr_write_b32 acc35, v19                     // 
s_mov_b64 s[34:35], 0xFFFFFFFFFFFFFFFF             // to restore all threads active
s_or_saveexec_b64 vcc, s[34:35]                    // all threads active
s_nop 3                                            // wait for exec mask
v_accvgpr_read_b32 v8, acc5                        // 
v_accvgpr_read_b32 v12, acc21                      // 
v_accvgpr_read_b32 v16, acc37                      // 
v_accvgpr_read_b32 v9, acc6                        // 
v_accvgpr_read_b32 v13, acc22                      // 
v_accvgpr_read_b32 v17, acc38                      // 
v_accvgpr_read_b32 v10, acc7                       // 
v_accvgpr_read_b32 v14, acc23                      // 
v_accvgpr_read_b32 v18, acc39                      // 
s_nop 1                                            // v_accvgpr read vgpr after write vgpr: 2 wait states
ds_bpermute_b32 v8, v6, v8, offset:128             // permute edge values
ds_bpermute_b32 v12, v6, v12, offset:128           // permute edge values
ds_bpermute_b32 v16, v6, v16, offset:128           // permute edge values
ds_bpermute_b32 v9, v6, v9, offset:128             // permute edge values
ds_bpermute_b32 v13, v6, v13, offset:128           // permute edge values
ds_bpermute_b32 v17, v6, v17, offset:128           // permute edge values
	;; [unrolled: 1-line block ×5, first 2 shown]
s_waitcnt lgkmcnt(0)                               // wait for swizzle operation
s_mov_b32 s34, 0                                   // which thread need to shfit in this block
_v_cmpx_eq_u32 s[34:35], v7, s34                   // is thread in edge glvw region
s_nop 3                                            // wait for exec mask
v_accvgpr_write_b32 acc4, v8                       // 
v_accvgpr_write_b32 acc20, v12                     // 
v_accvgpr_write_b32 acc36, v16                     // 
v_accvgpr_write_b32 acc5, v9                       // 
v_accvgpr_write_b32 acc21, v13                     // 
v_accvgpr_write_b32 acc37, v17                     // 
v_accvgpr_write_b32 acc6, v10                      // 
v_accvgpr_write_b32 acc22, v14                     // 
v_accvgpr_write_b32 acc38, v18                     // 
s_mov_b64 s[34:35], 0xFFFFFFFFFFFFFFFF             // to restore all threads active
s_or_saveexec_b64 vcc, s[34:35]                    // all threads active
s_nop 3                                            // wait for exec mask
s_branch label_0076                                // done

/******************************************/
/* shift d0 shift=11 glvwblk=1            */
/******************************************/
label_0063:
v_and_b32 v6, 63, v[vgprSerial]                    // permute register between threads
v_lshlrev_b32 v6, 0x2, v6                          // permute register between threads
v_lshrrev_b32 v0, 5, v[vgprSerial]                 // v0 = v[vgprSerial] / 32
v_and_b32 v7, 1, v0                                // v7 = v0 % 2
v_accvgpr_read_b32 v8, acc9                        // 
v_accvgpr_read_b32 v12, acc25                      // 
v_accvgpr_read_b32 v16, acc41                      // 
v_accvgpr_read_b32 v9, acc10                       // 
v_accvgpr_read_b32 v13, acc26                      // 
v_accvgpr_read_b32 v17, acc42                      // 
v_accvgpr_read_b32 v10, acc11                      // 
v_accvgpr_read_b32 v14, acc27                      // 
v_accvgpr_read_b32 v18, acc43                      // 
v_accvgpr_read_b32 v11, acc12                      // 
v_accvgpr_read_b32 v15, acc28                      // 
v_accvgpr_read_b32 v19, acc44                      // 
s_nop 1                                            // v_accvgpr read vgpr after write vgpr: 2 wait states
ds_bpermute_b32 v8, v6, v8, offset:128             // permute edge values
ds_bpermute_b32 v12, v6, v12, offset:128           // permute edge values
ds_bpermute_b32 v16, v6, v16, offset:128           // permute edge values
ds_bpermute_b32 v9, v6, v9, offset:128             // permute edge values
ds_bpermute_b32 v13, v6, v13, offset:128           // permute edge values
ds_bpermute_b32 v17, v6, v17, offset:128           // permute edge values
	;; [unrolled: 1-line block ×5, first 2 shown]
s_waitcnt lgkmcnt(0)                               // wait for swizzle operation
s_mov_b32 s34, 0                                   // which thread need to shfit in this block
_v_cmpx_eq_u32 s[34:35], v7, s34                   // is thread in edge glvw region
s_nop 3                                            // wait for exec mask
v_accvgpr_write_b32 acc8, v8                       // 
v_accvgpr_write_b32 acc24, v12                     // 
v_accvgpr_write_b32 acc40, v16                     // 
v_accvgpr_write_b32 acc9, v9                       // 
v_accvgpr_write_b32 acc25, v13                     // 
v_accvgpr_write_b32 acc41, v17                     // 
v_accvgpr_write_b32 acc10, v10                     // 
v_accvgpr_write_b32 acc26, v14                     // 
v_accvgpr_write_b32 acc42, v18                     // 
v_accvgpr_write_b32 acc11, v11                     // 
v_accvgpr_write_b32 acc27, v15                     // 
v_accvgpr_write_b32 acc43, v19                     // 
s_mov_b64 s[34:35], 0xFFFFFFFFFFFFFFFF             // to restore all threads active
s_or_saveexec_b64 vcc, s[34:35]                    // all threads active
s_nop 3                                            // wait for exec mask
v_accvgpr_read_b32 v8, acc13                       // 
v_accvgpr_read_b32 v12, acc29                      // 
v_accvgpr_read_b32 v16, acc45                      // 
v_accvgpr_read_b32 v9, acc14                       // 
v_accvgpr_read_b32 v13, acc30                      // 
v_accvgpr_read_b32 v17, acc46                      // 
v_accvgpr_read_b32 v10, acc15                      // 
v_accvgpr_read_b32 v14, acc31                      // 
v_accvgpr_read_b32 v18, acc47                      // 
v_accvgpr_read_b32 v11, acc12                      // 
v_accvgpr_read_b32 v15, acc28                      // 
v_accvgpr_read_b32 v19, acc44                      // 
s_nop 1                                            // v_accvgpr read vgpr after write vgpr: 2 wait states
ds_bpermute_b32 v8, v6, v8, offset:128             // permute edge values
ds_bpermute_b32 v12, v6, v12, offset:128           // permute edge values
ds_bpermute_b32 v16, v6, v16, offset:128           // permute edge values
ds_bpermute_b32 v9, v6, v9, offset:128             // permute edge values
ds_bpermute_b32 v13, v6, v13, offset:128           // permute edge values
ds_bpermute_b32 v17, v6, v17, offset:128           // permute edge values
	;; [unrolled: 1-line block ×5, first 2 shown]
s_waitcnt lgkmcnt(0)                               // wait for swizzle operation
s_mov_b32 s34, 1                                   // which thread need to shfit in this block
_v_cmpx_eq_u32 s[34:35], v7, s34                   // is thread in edge glvw region
s_nop 3                                            // wait for exec mask
v_accvgpr_write_b32 acc8, v8                       // 
v_accvgpr_write_b32 acc24, v12                     // 
v_accvgpr_write_b32 acc40, v16                     // 
v_accvgpr_write_b32 acc9, v9                       // 
v_accvgpr_write_b32 acc25, v13                     // 
v_accvgpr_write_b32 acc41, v17                     // 
v_accvgpr_write_b32 acc10, v10                     // 
v_accvgpr_write_b32 acc26, v14                     // 
v_accvgpr_write_b32 acc42, v18                     // 
v_accvgpr_write_b32 acc11, v11                     // 
v_accvgpr_write_b32 acc27, v15                     // 
v_accvgpr_write_b32 acc43, v19                     // 
s_mov_b64 s[34:35], 0xFFFFFFFFFFFFFFFF             // to restore all threads active
s_or_saveexec_b64 vcc, s[34:35]                    // all threads active
s_nop 3                                            // wait for exec mask
v_accvgpr_read_b32 v8, acc13                       // 
v_accvgpr_read_b32 v12, acc29                      // 
v_accvgpr_read_b32 v16, acc45                      // 
v_accvgpr_read_b32 v9, acc14                       // 
v_accvgpr_read_b32 v13, acc30                      // 
v_accvgpr_read_b32 v17, acc46                      // 
v_accvgpr_read_b32 v10, acc15                      // 
v_accvgpr_read_b32 v14, acc31                      // 
v_accvgpr_read_b32 v18, acc47                      // 
s_nop 1                                            // v_accvgpr read vgpr after write vgpr: 2 wait states
ds_bpermute_b32 v8, v6, v8, offset:128             // permute edge values
ds_bpermute_b32 v12, v6, v12, offset:128           // permute edge values
ds_bpermute_b32 v16, v6, v16, offset:128           // permute edge values
ds_bpermute_b32 v9, v6, v9, offset:128             // permute edge values
ds_bpermute_b32 v13, v6, v13, offset:128           // permute edge values
ds_bpermute_b32 v17, v6, v17, offset:128           // permute edge values
	;; [unrolled: 1-line block ×5, first 2 shown]
s_waitcnt lgkmcnt(0)                               // wait for swizzle operation
s_mov_b32 s34, 0                                   // which thread need to shfit in this block
_v_cmpx_eq_u32 s[34:35], v7, s34                   // is thread in edge glvw region
s_nop 3                                            // wait for exec mask
v_accvgpr_write_b32 acc12, v8                      // 
v_accvgpr_write_b32 acc28, v12                     // 
v_accvgpr_write_b32 acc44, v16                     // 
v_accvgpr_write_b32 acc13, v9                      // 
v_accvgpr_write_b32 acc29, v13                     // 
v_accvgpr_write_b32 acc45, v17                     // 
v_accvgpr_write_b32 acc14, v10                     // 
v_accvgpr_write_b32 acc30, v14                     // 
v_accvgpr_write_b32 acc46, v18                     // 
s_mov_b64 s[34:35], 0xFFFFFFFFFFFFFFFF             // to restore all threads active
s_or_saveexec_b64 vcc, s[34:35]                    // all threads active
s_nop 3                                            // wait for exec mask
s_branch label_0076                                // done

/******************************************/
/* shift d0 shift=12 glvwblk=0            */
/******************************************/
label_0065:
v_and_b32 v6, 63, v[vgprSerial]                    // permute register between threads
v_lshlrev_b32 v6, 0x2, v6                          // permute register between threads
v_lshrrev_b32 v0, 5, v[vgprSerial]                 // v0 = v[vgprSerial] / 32
v_and_b32 v7, 1, v0                                // v7 = v0 % 2
v_accvgpr_read_b32 v8, acc0                        // 
v_accvgpr_read_b32 v12, acc16                      // 
v_accvgpr_read_b32 v16, acc32                      // 
v_accvgpr_read_b32 v9, acc1                        // 
v_accvgpr_read_b32 v13, acc17                      // 
v_accvgpr_read_b32 v17, acc33                      // 
v_accvgpr_read_b32 v10, acc2                       // 
v_accvgpr_read_b32 v14, acc18                      // 
v_accvgpr_read_b32 v18, acc34                      // 
v_accvgpr_read_b32 v11, acc3                       // 
v_accvgpr_read_b32 v15, acc19                      // 
v_accvgpr_read_b32 v19, acc35                      // 
s_nop 1                                            // v_accvgpr read vgpr after write vgpr: 2 wait states
ds_bpermute_b32 v8, v6, v8, offset:128             // permute edge values
ds_bpermute_b32 v12, v6, v12, offset:128           // permute edge values
ds_bpermute_b32 v16, v6, v16, offset:128           // permute edge values
ds_bpermute_b32 v9, v6, v9, offset:128             // permute edge values
ds_bpermute_b32 v13, v6, v13, offset:128           // permute edge values
ds_bpermute_b32 v17, v6, v17, offset:128           // permute edge values
	;; [unrolled: 1-line block ×8, first 2 shown]
s_waitcnt lgkmcnt(0)                               // wait for swizzle operation
s_mov_b32 s34, 0                                   // which thread need to shfit in this block
_v_cmpx_eq_u32 s[34:35], v7, s34                   // is thread in edge glvw region
s_nop 3                                            // wait for exec mask
v_accvgpr_write_b32 acc0, v8                       // 
v_accvgpr_write_b32 acc16, v12                     // 
v_accvgpr_write_b32 acc32, v16                     // 
v_accvgpr_write_b32 acc1, v9                       // 
v_accvgpr_write_b32 acc17, v13                     // 
v_accvgpr_write_b32 acc33, v17                     // 
v_accvgpr_write_b32 acc2, v10                      // 
v_accvgpr_write_b32 acc18, v14                     // 
v_accvgpr_write_b32 acc34, v18                     // 
v_accvgpr_write_b32 acc3, v11                      // 
v_accvgpr_write_b32 acc19, v15                     // 
v_accvgpr_write_b32 acc35, v19                     // 
s_mov_b64 s[34:35], 0xFFFFFFFFFFFFFFFF             // to restore all threads active
s_or_saveexec_b64 vcc, s[34:35]                    // all threads active
s_nop 3                                            // wait for exec mask
v_accvgpr_read_b32 v8, acc4                        // 
v_accvgpr_read_b32 v12, acc20                      // 
v_accvgpr_read_b32 v16, acc36                      // 
v_accvgpr_read_b32 v9, acc5                        // 
v_accvgpr_read_b32 v13, acc21                      // 
v_accvgpr_read_b32 v17, acc37                      // 
v_accvgpr_read_b32 v10, acc6                       // 
v_accvgpr_read_b32 v14, acc22                      // 
v_accvgpr_read_b32 v18, acc38                      // 
v_accvgpr_read_b32 v11, acc7                       // 
v_accvgpr_read_b32 v15, acc23                      // 
v_accvgpr_read_b32 v19, acc39                      // 
s_nop 1                                            // v_accvgpr read vgpr after write vgpr: 2 wait states
ds_bpermute_b32 v8, v6, v8, offset:128             // permute edge values
ds_bpermute_b32 v12, v6, v12, offset:128           // permute edge values
ds_bpermute_b32 v16, v6, v16, offset:128           // permute edge values
ds_bpermute_b32 v9, v6, v9, offset:128             // permute edge values
ds_bpermute_b32 v13, v6, v13, offset:128           // permute edge values
ds_bpermute_b32 v17, v6, v17, offset:128           // permute edge values
	;; [unrolled: 1-line block ×8, first 2 shown]
s_waitcnt lgkmcnt(0)                               // wait for swizzle operation
s_mov_b32 s34, 1                                   // which thread need to shfit in this block
_v_cmpx_eq_u32 s[34:35], v7, s34                   // is thread in edge glvw region
s_nop 3                                            // wait for exec mask
v_accvgpr_write_b32 acc0, v8                       // 
v_accvgpr_write_b32 acc16, v12                     // 
v_accvgpr_write_b32 acc32, v16                     // 
v_accvgpr_write_b32 acc1, v9                       // 
v_accvgpr_write_b32 acc17, v13                     // 
v_accvgpr_write_b32 acc33, v17                     // 
v_accvgpr_write_b32 acc2, v10                      // 
v_accvgpr_write_b32 acc18, v14                     // 
v_accvgpr_write_b32 acc34, v18                     // 
v_accvgpr_write_b32 acc3, v11                      // 
v_accvgpr_write_b32 acc19, v15                     // 
v_accvgpr_write_b32 acc35, v19                     // 
s_mov_b64 s[34:35], 0xFFFFFFFFFFFFFFFF             // to restore all threads active
s_or_saveexec_b64 vcc, s[34:35]                    // all threads active
s_nop 3                                            // wait for exec mask
v_accvgpr_read_b32 v8, acc4                        // 
v_accvgpr_read_b32 v12, acc20                      // 
v_accvgpr_read_b32 v16, acc36                      // 
v_accvgpr_read_b32 v9, acc5                        // 
v_accvgpr_read_b32 v13, acc21                      // 
v_accvgpr_read_b32 v17, acc37                      // 
v_accvgpr_read_b32 v10, acc6                       // 
v_accvgpr_read_b32 v14, acc22                      // 
v_accvgpr_read_b32 v18, acc38                      // 
v_accvgpr_read_b32 v11, acc7                       // 
v_accvgpr_read_b32 v15, acc23                      // 
v_accvgpr_read_b32 v19, acc39                      // 
s_nop 1                                            // v_accvgpr read vgpr after write vgpr: 2 wait states
ds_bpermute_b32 v8, v6, v8, offset:128             // permute edge values
ds_bpermute_b32 v12, v6, v12, offset:128           // permute edge values
ds_bpermute_b32 v16, v6, v16, offset:128           // permute edge values
ds_bpermute_b32 v9, v6, v9, offset:128             // permute edge values
ds_bpermute_b32 v13, v6, v13, offset:128           // permute edge values
ds_bpermute_b32 v17, v6, v17, offset:128           // permute edge values
	;; [unrolled: 1-line block ×8, first 2 shown]
s_waitcnt lgkmcnt(0)                               // wait for swizzle operation
s_mov_b32 s34, 0                                   // which thread need to shfit in this block
_v_cmpx_eq_u32 s[34:35], v7, s34                   // is thread in edge glvw region
s_nop 3                                            // wait for exec mask
v_accvgpr_write_b32 acc4, v8                       // 
v_accvgpr_write_b32 acc20, v12                     // 
v_accvgpr_write_b32 acc36, v16                     // 
v_accvgpr_write_b32 acc5, v9                       // 
v_accvgpr_write_b32 acc21, v13                     // 
v_accvgpr_write_b32 acc37, v17                     // 
v_accvgpr_write_b32 acc6, v10                      // 
v_accvgpr_write_b32 acc22, v14                     // 
v_accvgpr_write_b32 acc38, v18                     // 
v_accvgpr_write_b32 acc7, v11                      // 
v_accvgpr_write_b32 acc23, v15                     // 
v_accvgpr_write_b32 acc39, v19                     // 
s_mov_b64 s[34:35], 0xFFFFFFFFFFFFFFFF             // to restore all threads active
s_or_saveexec_b64 vcc, s[34:35]                    // all threads active
s_nop 3                                            // wait for exec mask
s_branch label_0076                                // done

/******************************************/
/* shift d0 shift=12 glvwblk=1            */
/******************************************/
label_0066:
v_and_b32 v6, 63, v[vgprSerial]                    // permute register between threads
v_lshlrev_b32 v6, 0x2, v6                          // permute register between threads
v_lshrrev_b32 v0, 5, v[vgprSerial]                 // v0 = v[vgprSerial] / 32
v_and_b32 v7, 1, v0                                // v7 = v0 % 2
v_accvgpr_read_b32 v8, acc8                        // 
v_accvgpr_read_b32 v12, acc24                      // 
v_accvgpr_read_b32 v16, acc40                      // 
v_accvgpr_read_b32 v9, acc9                        // 
v_accvgpr_read_b32 v13, acc25                      // 
v_accvgpr_read_b32 v17, acc41                      // 
v_accvgpr_read_b32 v10, acc10                      // 
v_accvgpr_read_b32 v14, acc26                      // 
v_accvgpr_read_b32 v18, acc42                      // 
v_accvgpr_read_b32 v11, acc11                      // 
v_accvgpr_read_b32 v15, acc27                      // 
v_accvgpr_read_b32 v19, acc43                      // 
s_nop 1                                            // v_accvgpr read vgpr after write vgpr: 2 wait states
ds_bpermute_b32 v8, v6, v8, offset:128             // permute edge values
ds_bpermute_b32 v12, v6, v12, offset:128           // permute edge values
ds_bpermute_b32 v16, v6, v16, offset:128           // permute edge values
ds_bpermute_b32 v9, v6, v9, offset:128             // permute edge values
ds_bpermute_b32 v13, v6, v13, offset:128           // permute edge values
ds_bpermute_b32 v17, v6, v17, offset:128           // permute edge values
	;; [unrolled: 1-line block ×8, first 2 shown]
s_waitcnt lgkmcnt(0)                               // wait for swizzle operation
s_mov_b32 s34, 0                                   // which thread need to shfit in this block
_v_cmpx_eq_u32 s[34:35], v7, s34                   // is thread in edge glvw region
s_nop 3                                            // wait for exec mask
v_accvgpr_write_b32 acc8, v8                       // 
v_accvgpr_write_b32 acc24, v12                     // 
v_accvgpr_write_b32 acc40, v16                     // 
v_accvgpr_write_b32 acc9, v9                       // 
v_accvgpr_write_b32 acc25, v13                     // 
v_accvgpr_write_b32 acc41, v17                     // 
v_accvgpr_write_b32 acc10, v10                     // 
v_accvgpr_write_b32 acc26, v14                     // 
v_accvgpr_write_b32 acc42, v18                     // 
v_accvgpr_write_b32 acc11, v11                     // 
v_accvgpr_write_b32 acc27, v15                     // 
v_accvgpr_write_b32 acc43, v19                     // 
s_mov_b64 s[34:35], 0xFFFFFFFFFFFFFFFF             // to restore all threads active
s_or_saveexec_b64 vcc, s[34:35]                    // all threads active
s_nop 3                                            // wait for exec mask
v_accvgpr_read_b32 v8, acc12                       // 
v_accvgpr_read_b32 v12, acc28                      // 
v_accvgpr_read_b32 v16, acc44                      // 
v_accvgpr_read_b32 v9, acc13                       // 
v_accvgpr_read_b32 v13, acc29                      // 
v_accvgpr_read_b32 v17, acc45                      // 
v_accvgpr_read_b32 v10, acc14                      // 
v_accvgpr_read_b32 v14, acc30                      // 
v_accvgpr_read_b32 v18, acc46                      // 
v_accvgpr_read_b32 v11, acc15                      // 
v_accvgpr_read_b32 v15, acc31                      // 
v_accvgpr_read_b32 v19, acc47                      // 
s_nop 1                                            // v_accvgpr read vgpr after write vgpr: 2 wait states
ds_bpermute_b32 v8, v6, v8, offset:128             // permute edge values
ds_bpermute_b32 v12, v6, v12, offset:128           // permute edge values
ds_bpermute_b32 v16, v6, v16, offset:128           // permute edge values
ds_bpermute_b32 v9, v6, v9, offset:128             // permute edge values
ds_bpermute_b32 v13, v6, v13, offset:128           // permute edge values
ds_bpermute_b32 v17, v6, v17, offset:128           // permute edge values
	;; [unrolled: 1-line block ×8, first 2 shown]
s_waitcnt lgkmcnt(0)                               // wait for swizzle operation
s_mov_b32 s34, 1                                   // which thread need to shfit in this block
_v_cmpx_eq_u32 s[34:35], v7, s34                   // is thread in edge glvw region
s_nop 3                                            // wait for exec mask
v_accvgpr_write_b32 acc8, v8                       // 
v_accvgpr_write_b32 acc24, v12                     // 
v_accvgpr_write_b32 acc40, v16                     // 
v_accvgpr_write_b32 acc9, v9                       // 
v_accvgpr_write_b32 acc25, v13                     // 
v_accvgpr_write_b32 acc41, v17                     // 
v_accvgpr_write_b32 acc10, v10                     // 
v_accvgpr_write_b32 acc26, v14                     // 
v_accvgpr_write_b32 acc42, v18                     // 
v_accvgpr_write_b32 acc11, v11                     // 
v_accvgpr_write_b32 acc27, v15                     // 
v_accvgpr_write_b32 acc43, v19                     // 
s_mov_b64 s[34:35], 0xFFFFFFFFFFFFFFFF             // to restore all threads active
s_or_saveexec_b64 vcc, s[34:35]                    // all threads active
s_nop 3                                            // wait for exec mask
v_accvgpr_read_b32 v8, acc12                       // 
v_accvgpr_read_b32 v12, acc28                      // 
v_accvgpr_read_b32 v16, acc44                      // 
v_accvgpr_read_b32 v9, acc13                       // 
v_accvgpr_read_b32 v13, acc29                      // 
v_accvgpr_read_b32 v17, acc45                      // 
v_accvgpr_read_b32 v10, acc14                      // 
v_accvgpr_read_b32 v14, acc30                      // 
v_accvgpr_read_b32 v18, acc46                      // 
v_accvgpr_read_b32 v11, acc15                      // 
v_accvgpr_read_b32 v15, acc31                      // 
v_accvgpr_read_b32 v19, acc47                      // 
s_nop 1                                            // v_accvgpr read vgpr after write vgpr: 2 wait states
ds_bpermute_b32 v8, v6, v8, offset:128             // permute edge values
ds_bpermute_b32 v12, v6, v12, offset:128           // permute edge values
ds_bpermute_b32 v16, v6, v16, offset:128           // permute edge values
ds_bpermute_b32 v9, v6, v9, offset:128             // permute edge values
ds_bpermute_b32 v13, v6, v13, offset:128           // permute edge values
ds_bpermute_b32 v17, v6, v17, offset:128           // permute edge values
	;; [unrolled: 1-line block ×8, first 2 shown]
s_waitcnt lgkmcnt(0)                               // wait for swizzle operation
s_mov_b32 s34, 0                                   // which thread need to shfit in this block
_v_cmpx_eq_u32 s[34:35], v7, s34                   // is thread in edge glvw region
s_nop 3                                            // wait for exec mask
v_accvgpr_write_b32 acc12, v8                      // 
v_accvgpr_write_b32 acc28, v12                     // 
v_accvgpr_write_b32 acc44, v16                     // 
v_accvgpr_write_b32 acc13, v9                      // 
v_accvgpr_write_b32 acc29, v13                     // 
v_accvgpr_write_b32 acc45, v17                     // 
v_accvgpr_write_b32 acc14, v10                     // 
v_accvgpr_write_b32 acc30, v14                     // 
v_accvgpr_write_b32 acc46, v18                     // 
v_accvgpr_write_b32 acc15, v11                     // 
v_accvgpr_write_b32 acc31, v15                     // 
v_accvgpr_write_b32 acc47, v19                     // 
s_mov_b64 s[34:35], 0xFFFFFFFFFFFFFFFF             // to restore all threads active
s_or_saveexec_b64 vcc, s[34:35]                    // all threads active
s_nop 3                                            // wait for exec mask
s_branch label_0076                                // done

/******************************************/
/* shift d0 shift=13 glvwblk=0            */
/******************************************/
label_0068:
v_and_b32 v6, 63, v[vgprSerial]                    // permute register between threads
v_lshlrev_b32 v6, 0x2, v6                          // permute register between threads
v_lshrrev_b32 v0, 5, v[vgprSerial]                 // v0 = v[vgprSerial] / 32
v_and_b32 v7, 1, v0                                // v7 = v0 % 2
v_accvgpr_read_b32 v8, acc3                        // 
v_accvgpr_read_b32 v12, acc19                      // 
v_accvgpr_read_b32 v16, acc35                      // 
v_accvgpr_read_b32 v9, acc0                        // 
v_accvgpr_read_b32 v13, acc16                      // 
v_accvgpr_read_b32 v17, acc32                      // 
v_accvgpr_read_b32 v10, acc1                       // 
v_accvgpr_read_b32 v14, acc17                      // 
v_accvgpr_read_b32 v18, acc33                      // 
v_accvgpr_read_b32 v11, acc2                       // 
v_accvgpr_read_b32 v15, acc18                      // 
v_accvgpr_read_b32 v19, acc34                      // 
s_nop 1                                            // v_accvgpr read vgpr after write vgpr: 2 wait states
ds_bpermute_b32 v9, v6, v9, offset:128             // permute edge values
ds_bpermute_b32 v13, v6, v13, offset:128           // permute edge values
ds_bpermute_b32 v17, v6, v17, offset:128           // permute edge values
	;; [unrolled: 1-line block ×8, first 2 shown]
s_waitcnt lgkmcnt(0)                               // wait for swizzle operation
s_mov_b32 s34, 0                                   // which thread need to shfit in this block
_v_cmpx_eq_u32 s[34:35], v7, s34                   // is thread in edge glvw region
s_nop 3                                            // wait for exec mask
v_accvgpr_write_b32 acc0, v8                       // 
v_accvgpr_write_b32 acc16, v12                     // 
v_accvgpr_write_b32 acc32, v16                     // 
v_accvgpr_write_b32 acc1, v9                       // 
v_accvgpr_write_b32 acc17, v13                     // 
v_accvgpr_write_b32 acc33, v17                     // 
v_accvgpr_write_b32 acc2, v10                      // 
v_accvgpr_write_b32 acc18, v14                     // 
v_accvgpr_write_b32 acc34, v18                     // 
v_accvgpr_write_b32 acc3, v11                      // 
v_accvgpr_write_b32 acc19, v15                     // 
v_accvgpr_write_b32 acc35, v19                     // 
s_mov_b64 s[34:35], 0xFFFFFFFFFFFFFFFF             // to restore all threads active
s_or_saveexec_b64 vcc, s[34:35]                    // all threads active
s_nop 3                                            // wait for exec mask
v_accvgpr_read_b32 v8, acc3                        // 
v_accvgpr_read_b32 v12, acc19                      // 
v_accvgpr_read_b32 v16, acc35                      // 
v_accvgpr_read_b32 v9, acc4                        // 
v_accvgpr_read_b32 v13, acc20                      // 
v_accvgpr_read_b32 v17, acc36                      // 
v_accvgpr_read_b32 v10, acc5                       // 
v_accvgpr_read_b32 v14, acc21                      // 
v_accvgpr_read_b32 v18, acc37                      // 
v_accvgpr_read_b32 v11, acc6                       // 
v_accvgpr_read_b32 v15, acc22                      // 
v_accvgpr_read_b32 v19, acc38                      // 
s_nop 1                                            // v_accvgpr read vgpr after write vgpr: 2 wait states
ds_bpermute_b32 v9, v6, v9, offset:128             // permute edge values
ds_bpermute_b32 v13, v6, v13, offset:128           // permute edge values
ds_bpermute_b32 v17, v6, v17, offset:128           // permute edge values
	;; [unrolled: 1-line block ×8, first 2 shown]
s_waitcnt lgkmcnt(0)                               // wait for swizzle operation
s_mov_b32 s34, 1                                   // which thread need to shfit in this block
_v_cmpx_eq_u32 s[34:35], v7, s34                   // is thread in edge glvw region
s_nop 3                                            // wait for exec mask
v_accvgpr_write_b32 acc0, v8                       // 
v_accvgpr_write_b32 acc16, v12                     // 
v_accvgpr_write_b32 acc32, v16                     // 
v_accvgpr_write_b32 acc1, v9                       // 
v_accvgpr_write_b32 acc17, v13                     // 
v_accvgpr_write_b32 acc33, v17                     // 
v_accvgpr_write_b32 acc2, v10                      // 
v_accvgpr_write_b32 acc18, v14                     // 
v_accvgpr_write_b32 acc34, v18                     // 
v_accvgpr_write_b32 acc3, v11                      // 
v_accvgpr_write_b32 acc19, v15                     // 
v_accvgpr_write_b32 acc35, v19                     // 
s_mov_b64 s[34:35], 0xFFFFFFFFFFFFFFFF             // to restore all threads active
s_or_saveexec_b64 vcc, s[34:35]                    // all threads active
s_nop 3                                            // wait for exec mask
v_accvgpr_read_b32 v8, acc7                        // 
v_accvgpr_read_b32 v12, acc23                      // 
v_accvgpr_read_b32 v16, acc39                      // 
v_accvgpr_read_b32 v9, acc4                        // 
v_accvgpr_read_b32 v13, acc20                      // 
v_accvgpr_read_b32 v17, acc36                      // 
v_accvgpr_read_b32 v10, acc5                       // 
v_accvgpr_read_b32 v14, acc21                      // 
v_accvgpr_read_b32 v18, acc37                      // 
v_accvgpr_read_b32 v11, acc6                       // 
v_accvgpr_read_b32 v15, acc22                      // 
v_accvgpr_read_b32 v19, acc38                      // 
s_nop 1                                            // v_accvgpr read vgpr after write vgpr: 2 wait states
ds_bpermute_b32 v9, v6, v9, offset:128             // permute edge values
ds_bpermute_b32 v13, v6, v13, offset:128           // permute edge values
ds_bpermute_b32 v17, v6, v17, offset:128           // permute edge values
	;; [unrolled: 1-line block ×8, first 2 shown]
s_waitcnt lgkmcnt(0)                               // wait for swizzle operation
s_mov_b32 s34, 0                                   // which thread need to shfit in this block
_v_cmpx_eq_u32 s[34:35], v7, s34                   // is thread in edge glvw region
s_nop 3                                            // wait for exec mask
v_accvgpr_write_b32 acc4, v8                       // 
v_accvgpr_write_b32 acc20, v12                     // 
v_accvgpr_write_b32 acc36, v16                     // 
v_accvgpr_write_b32 acc5, v9                       // 
v_accvgpr_write_b32 acc21, v13                     // 
v_accvgpr_write_b32 acc37, v17                     // 
v_accvgpr_write_b32 acc6, v10                      // 
v_accvgpr_write_b32 acc22, v14                     // 
v_accvgpr_write_b32 acc38, v18                     // 
v_accvgpr_write_b32 acc7, v11                      // 
v_accvgpr_write_b32 acc23, v15                     // 
v_accvgpr_write_b32 acc39, v19                     // 
s_mov_b64 s[34:35], 0xFFFFFFFFFFFFFFFF             // to restore all threads active
s_or_saveexec_b64 vcc, s[34:35]                    // all threads active
s_nop 3                                            // wait for exec mask
v_accvgpr_read_b32 v8, acc7                        // 
v_accvgpr_read_b32 v12, acc23                      // 
v_accvgpr_read_b32 v16, acc39                      // 
s_nop 1                                            // v_accvgpr read vgpr after write vgpr: 2 wait states
s_mov_b32 s34, 1                                   // which thread need to shfit in this block
_v_cmpx_eq_u32 s[34:35], v7, s34                   // is thread in edge glvw region
s_nop 3                                            // wait for exec mask
v_accvgpr_write_b32 acc4, v8                       // 
v_accvgpr_write_b32 acc20, v12                     // 
v_accvgpr_write_b32 acc36, v16                     // 
s_mov_b64 s[34:35], 0xFFFFFFFFFFFFFFFF             // to restore all threads active
s_or_saveexec_b64 vcc, s[34:35]                    // all threads active
s_nop 3                                            // wait for exec mask
s_branch label_0076                                // done

/******************************************/
/* shift d0 shift=13 glvwblk=1            */
/******************************************/
label_0069:
v_and_b32 v6, 63, v[vgprSerial]                    // permute register between threads
v_lshlrev_b32 v6, 0x2, v6                          // permute register between threads
v_lshrrev_b32 v0, 5, v[vgprSerial]                 // v0 = v[vgprSerial] / 32
v_and_b32 v7, 1, v0                                // v7 = v0 % 2
v_accvgpr_read_b32 v8, acc11                       // 
v_accvgpr_read_b32 v12, acc27                      // 
v_accvgpr_read_b32 v16, acc43                      // 
v_accvgpr_read_b32 v9, acc8                        // 
v_accvgpr_read_b32 v13, acc24                      // 
v_accvgpr_read_b32 v17, acc40                      // 
v_accvgpr_read_b32 v10, acc9                       // 
v_accvgpr_read_b32 v14, acc25                      // 
v_accvgpr_read_b32 v18, acc41                      // 
v_accvgpr_read_b32 v11, acc10                      // 
v_accvgpr_read_b32 v15, acc26                      // 
v_accvgpr_read_b32 v19, acc42                      // 
s_nop 1                                            // v_accvgpr read vgpr after write vgpr: 2 wait states
ds_bpermute_b32 v9, v6, v9, offset:128             // permute edge values
ds_bpermute_b32 v13, v6, v13, offset:128           // permute edge values
ds_bpermute_b32 v17, v6, v17, offset:128           // permute edge values
ds_bpermute_b32 v10, v6, v10, offset:128           // permute edge values
ds_bpermute_b32 v14, v6, v14, offset:128           // permute edge values
ds_bpermute_b32 v18, v6, v18, offset:128           // permute edge values
ds_bpermute_b32 v11, v6, v11, offset:128           // permute edge values
ds_bpermute_b32 v15, v6, v15, offset:128           // permute edge values
ds_bpermute_b32 v19, v6, v19, offset:128           // permute edge values
s_waitcnt lgkmcnt(0)                               // wait for swizzle operation
s_mov_b32 s34, 0                                   // which thread need to shfit in this block
_v_cmpx_eq_u32 s[34:35], v7, s34                   // is thread in edge glvw region
s_nop 3                                            // wait for exec mask
v_accvgpr_write_b32 acc8, v8                       // 
v_accvgpr_write_b32 acc24, v12                     // 
v_accvgpr_write_b32 acc40, v16                     // 
v_accvgpr_write_b32 acc9, v9                       // 
v_accvgpr_write_b32 acc25, v13                     // 
v_accvgpr_write_b32 acc41, v17                     // 
v_accvgpr_write_b32 acc10, v10                     // 
v_accvgpr_write_b32 acc26, v14                     // 
v_accvgpr_write_b32 acc42, v18                     // 
v_accvgpr_write_b32 acc11, v11                     // 
v_accvgpr_write_b32 acc27, v15                     // 
v_accvgpr_write_b32 acc43, v19                     // 
s_mov_b64 s[34:35], 0xFFFFFFFFFFFFFFFF             // to restore all threads active
s_or_saveexec_b64 vcc, s[34:35]                    // all threads active
s_nop 3                                            // wait for exec mask
v_accvgpr_read_b32 v8, acc11                       // 
v_accvgpr_read_b32 v12, acc27                      // 
v_accvgpr_read_b32 v16, acc43                      // 
v_accvgpr_read_b32 v9, acc12                       // 
v_accvgpr_read_b32 v13, acc28                      // 
v_accvgpr_read_b32 v17, acc44                      // 
v_accvgpr_read_b32 v10, acc13                      // 
v_accvgpr_read_b32 v14, acc29                      // 
v_accvgpr_read_b32 v18, acc45                      // 
v_accvgpr_read_b32 v11, acc14                      // 
v_accvgpr_read_b32 v15, acc30                      // 
v_accvgpr_read_b32 v19, acc46                      // 
s_nop 1                                            // v_accvgpr read vgpr after write vgpr: 2 wait states
ds_bpermute_b32 v9, v6, v9, offset:128             // permute edge values
ds_bpermute_b32 v13, v6, v13, offset:128           // permute edge values
ds_bpermute_b32 v17, v6, v17, offset:128           // permute edge values
	;; [unrolled: 1-line block ×8, first 2 shown]
s_waitcnt lgkmcnt(0)                               // wait for swizzle operation
s_mov_b32 s34, 1                                   // which thread need to shfit in this block
_v_cmpx_eq_u32 s[34:35], v7, s34                   // is thread in edge glvw region
s_nop 3                                            // wait for exec mask
v_accvgpr_write_b32 acc8, v8                       // 
v_accvgpr_write_b32 acc24, v12                     // 
v_accvgpr_write_b32 acc40, v16                     // 
v_accvgpr_write_b32 acc9, v9                       // 
v_accvgpr_write_b32 acc25, v13                     // 
v_accvgpr_write_b32 acc41, v17                     // 
v_accvgpr_write_b32 acc10, v10                     // 
v_accvgpr_write_b32 acc26, v14                     // 
v_accvgpr_write_b32 acc42, v18                     // 
v_accvgpr_write_b32 acc11, v11                     // 
v_accvgpr_write_b32 acc27, v15                     // 
v_accvgpr_write_b32 acc43, v19                     // 
s_mov_b64 s[34:35], 0xFFFFFFFFFFFFFFFF             // to restore all threads active
s_or_saveexec_b64 vcc, s[34:35]                    // all threads active
s_nop 3                                            // wait for exec mask
v_accvgpr_read_b32 v8, acc15                       // 
v_accvgpr_read_b32 v12, acc31                      // 
v_accvgpr_read_b32 v16, acc47                      // 
v_accvgpr_read_b32 v9, acc12                       // 
v_accvgpr_read_b32 v13, acc28                      // 
v_accvgpr_read_b32 v17, acc44                      // 
v_accvgpr_read_b32 v10, acc13                      // 
v_accvgpr_read_b32 v14, acc29                      // 
v_accvgpr_read_b32 v18, acc45                      // 
v_accvgpr_read_b32 v11, acc14                      // 
v_accvgpr_read_b32 v15, acc30                      // 
v_accvgpr_read_b32 v19, acc46                      // 
s_nop 1                                            // v_accvgpr read vgpr after write vgpr: 2 wait states
ds_bpermute_b32 v9, v6, v9, offset:128             // permute edge values
ds_bpermute_b32 v13, v6, v13, offset:128           // permute edge values
ds_bpermute_b32 v17, v6, v17, offset:128           // permute edge values
	;; [unrolled: 1-line block ×8, first 2 shown]
s_waitcnt lgkmcnt(0)                               // wait for swizzle operation
s_mov_b32 s34, 0                                   // which thread need to shfit in this block
_v_cmpx_eq_u32 s[34:35], v7, s34                   // is thread in edge glvw region
s_nop 3                                            // wait for exec mask
v_accvgpr_write_b32 acc12, v8                      // 
v_accvgpr_write_b32 acc28, v12                     // 
v_accvgpr_write_b32 acc44, v16                     // 
v_accvgpr_write_b32 acc13, v9                      // 
v_accvgpr_write_b32 acc29, v13                     // 
v_accvgpr_write_b32 acc45, v17                     // 
v_accvgpr_write_b32 acc14, v10                     // 
v_accvgpr_write_b32 acc30, v14                     // 
v_accvgpr_write_b32 acc46, v18                     // 
v_accvgpr_write_b32 acc15, v11                     // 
v_accvgpr_write_b32 acc31, v15                     // 
v_accvgpr_write_b32 acc47, v19                     // 
s_mov_b64 s[34:35], 0xFFFFFFFFFFFFFFFF             // to restore all threads active
s_or_saveexec_b64 vcc, s[34:35]                    // all threads active
s_nop 3                                            // wait for exec mask
v_accvgpr_read_b32 v8, acc15                       // 
v_accvgpr_read_b32 v12, acc31                      // 
v_accvgpr_read_b32 v16, acc47                      // 
s_nop 1                                            // v_accvgpr read vgpr after write vgpr: 2 wait states
s_mov_b32 s34, 1                                   // which thread need to shfit in this block
_v_cmpx_eq_u32 s[34:35], v7, s34                   // is thread in edge glvw region
s_nop 3                                            // wait for exec mask
v_accvgpr_write_b32 acc12, v8                      // 
v_accvgpr_write_b32 acc28, v12                     // 
v_accvgpr_write_b32 acc44, v16                     // 
s_mov_b64 s[34:35], 0xFFFFFFFFFFFFFFFF             // to restore all threads active
s_or_saveexec_b64 vcc, s[34:35]                    // all threads active
s_nop 3                                            // wait for exec mask
s_branch label_0076                                // done

/******************************************/
/* shift d0 shift=14 glvwblk=0            */
/******************************************/
label_0071:
v_and_b32 v6, 63, v[vgprSerial]                    // permute register between threads
v_lshlrev_b32 v6, 0x2, v6                          // permute register between threads
v_lshrrev_b32 v0, 5, v[vgprSerial]                 // v0 = v[vgprSerial] / 32
v_and_b32 v7, 1, v0                                // v7 = v0 % 2
v_accvgpr_read_b32 v8, acc2                        // 
v_accvgpr_read_b32 v12, acc18                      // 
v_accvgpr_read_b32 v16, acc34                      // 
v_accvgpr_read_b32 v9, acc3                        // 
v_accvgpr_read_b32 v13, acc19                      // 
v_accvgpr_read_b32 v17, acc35                      // 
v_accvgpr_read_b32 v10, acc0                       // 
v_accvgpr_read_b32 v14, acc16                      // 
v_accvgpr_read_b32 v18, acc32                      // 
v_accvgpr_read_b32 v11, acc1                       // 
v_accvgpr_read_b32 v15, acc17                      // 
v_accvgpr_read_b32 v19, acc33                      // 
s_nop 1                                            // v_accvgpr read vgpr after write vgpr: 2 wait states
ds_bpermute_b32 v10, v6, v10, offset:128           // permute edge values
ds_bpermute_b32 v14, v6, v14, offset:128           // permute edge values
	;; [unrolled: 1-line block ×6, first 2 shown]
s_waitcnt lgkmcnt(0)                               // wait for swizzle operation
s_mov_b32 s34, 0                                   // which thread need to shfit in this block
_v_cmpx_eq_u32 s[34:35], v7, s34                   // is thread in edge glvw region
s_nop 3                                            // wait for exec mask
v_accvgpr_write_b32 acc0, v8                       // 
v_accvgpr_write_b32 acc16, v12                     // 
v_accvgpr_write_b32 acc32, v16                     // 
v_accvgpr_write_b32 acc1, v9                       // 
v_accvgpr_write_b32 acc17, v13                     // 
v_accvgpr_write_b32 acc33, v17                     // 
v_accvgpr_write_b32 acc2, v10                      // 
v_accvgpr_write_b32 acc18, v14                     // 
v_accvgpr_write_b32 acc34, v18                     // 
v_accvgpr_write_b32 acc3, v11                      // 
v_accvgpr_write_b32 acc19, v15                     // 
v_accvgpr_write_b32 acc35, v19                     // 
s_mov_b64 s[34:35], 0xFFFFFFFFFFFFFFFF             // to restore all threads active
s_or_saveexec_b64 vcc, s[34:35]                    // all threads active
s_nop 3                                            // wait for exec mask
v_accvgpr_read_b32 v8, acc2                        // 
v_accvgpr_read_b32 v12, acc18                      // 
v_accvgpr_read_b32 v16, acc34                      // 
v_accvgpr_read_b32 v9, acc3                        // 
v_accvgpr_read_b32 v13, acc19                      // 
v_accvgpr_read_b32 v17, acc35                      // 
v_accvgpr_read_b32 v10, acc4                       // 
v_accvgpr_read_b32 v14, acc20                      // 
v_accvgpr_read_b32 v18, acc36                      // 
v_accvgpr_read_b32 v11, acc5                       // 
v_accvgpr_read_b32 v15, acc21                      // 
v_accvgpr_read_b32 v19, acc37                      // 
s_nop 1                                            // v_accvgpr read vgpr after write vgpr: 2 wait states
ds_bpermute_b32 v10, v6, v10, offset:128           // permute edge values
ds_bpermute_b32 v14, v6, v14, offset:128           // permute edge values
	;; [unrolled: 1-line block ×6, first 2 shown]
s_waitcnt lgkmcnt(0)                               // wait for swizzle operation
s_mov_b32 s34, 1                                   // which thread need to shfit in this block
_v_cmpx_eq_u32 s[34:35], v7, s34                   // is thread in edge glvw region
s_nop 3                                            // wait for exec mask
v_accvgpr_write_b32 acc0, v8                       // 
v_accvgpr_write_b32 acc16, v12                     // 
v_accvgpr_write_b32 acc32, v16                     // 
v_accvgpr_write_b32 acc1, v9                       // 
v_accvgpr_write_b32 acc17, v13                     // 
v_accvgpr_write_b32 acc33, v17                     // 
v_accvgpr_write_b32 acc2, v10                      // 
v_accvgpr_write_b32 acc18, v14                     // 
v_accvgpr_write_b32 acc34, v18                     // 
v_accvgpr_write_b32 acc3, v11                      // 
v_accvgpr_write_b32 acc19, v15                     // 
v_accvgpr_write_b32 acc35, v19                     // 
s_mov_b64 s[34:35], 0xFFFFFFFFFFFFFFFF             // to restore all threads active
s_or_saveexec_b64 vcc, s[34:35]                    // all threads active
s_nop 3                                            // wait for exec mask
v_accvgpr_read_b32 v8, acc6                        // 
v_accvgpr_read_b32 v12, acc22                      // 
v_accvgpr_read_b32 v16, acc38                      // 
v_accvgpr_read_b32 v9, acc7                        // 
v_accvgpr_read_b32 v13, acc23                      // 
v_accvgpr_read_b32 v17, acc39                      // 
v_accvgpr_read_b32 v10, acc4                       // 
v_accvgpr_read_b32 v14, acc20                      // 
v_accvgpr_read_b32 v18, acc36                      // 
v_accvgpr_read_b32 v11, acc5                       // 
v_accvgpr_read_b32 v15, acc21                      // 
v_accvgpr_read_b32 v19, acc37                      // 
s_nop 1                                            // v_accvgpr read vgpr after write vgpr: 2 wait states
ds_bpermute_b32 v10, v6, v10, offset:128           // permute edge values
ds_bpermute_b32 v14, v6, v14, offset:128           // permute edge values
ds_bpermute_b32 v18, v6, v18, offset:128           // permute edge values
ds_bpermute_b32 v11, v6, v11, offset:128           // permute edge values
ds_bpermute_b32 v15, v6, v15, offset:128           // permute edge values
ds_bpermute_b32 v19, v6, v19, offset:128           // permute edge values
s_waitcnt lgkmcnt(0)                               // wait for swizzle operation
s_mov_b32 s34, 0                                   // which thread need to shfit in this block
_v_cmpx_eq_u32 s[34:35], v7, s34                   // is thread in edge glvw region
s_nop 3                                            // wait for exec mask
v_accvgpr_write_b32 acc4, v8                       // 
v_accvgpr_write_b32 acc20, v12                     // 
v_accvgpr_write_b32 acc36, v16                     // 
v_accvgpr_write_b32 acc5, v9                       // 
v_accvgpr_write_b32 acc21, v13                     // 
v_accvgpr_write_b32 acc37, v17                     // 
v_accvgpr_write_b32 acc6, v10                      // 
v_accvgpr_write_b32 acc22, v14                     // 
v_accvgpr_write_b32 acc38, v18                     // 
v_accvgpr_write_b32 acc7, v11                      // 
v_accvgpr_write_b32 acc23, v15                     // 
v_accvgpr_write_b32 acc39, v19                     // 
s_mov_b64 s[34:35], 0xFFFFFFFFFFFFFFFF             // to restore all threads active
s_or_saveexec_b64 vcc, s[34:35]                    // all threads active
s_nop 3                                            // wait for exec mask
v_accvgpr_read_b32 v8, acc6                        // 
v_accvgpr_read_b32 v12, acc22                      // 
v_accvgpr_read_b32 v16, acc38                      // 
v_accvgpr_read_b32 v9, acc7                        // 
v_accvgpr_read_b32 v13, acc23                      // 
v_accvgpr_read_b32 v17, acc39                      // 
s_nop 1                                            // v_accvgpr read vgpr after write vgpr: 2 wait states
s_mov_b32 s34, 1                                   // which thread need to shfit in this block
_v_cmpx_eq_u32 s[34:35], v7, s34                   // is thread in edge glvw region
s_nop 3                                            // wait for exec mask
v_accvgpr_write_b32 acc4, v8                       // 
v_accvgpr_write_b32 acc20, v12                     // 
v_accvgpr_write_b32 acc36, v16                     // 
v_accvgpr_write_b32 acc5, v9                       // 
v_accvgpr_write_b32 acc21, v13                     // 
v_accvgpr_write_b32 acc37, v17                     // 
s_mov_b64 s[34:35], 0xFFFFFFFFFFFFFFFF             // to restore all threads active
s_or_saveexec_b64 vcc, s[34:35]                    // all threads active
s_nop 3                                            // wait for exec mask
s_branch label_0076                                // done

/******************************************/
/* shift d0 shift=14 glvwblk=1            */
/******************************************/
label_0072:
v_and_b32 v6, 63, v[vgprSerial]                    // permute register between threads
v_lshlrev_b32 v6, 0x2, v6                          // permute register between threads
v_lshrrev_b32 v0, 5, v[vgprSerial]                 // v0 = v[vgprSerial] / 32
v_and_b32 v7, 1, v0                                // v7 = v0 % 2
v_accvgpr_read_b32 v8, acc10                       // 
v_accvgpr_read_b32 v12, acc26                      // 
v_accvgpr_read_b32 v16, acc42                      // 
v_accvgpr_read_b32 v9, acc11                       // 
v_accvgpr_read_b32 v13, acc27                      // 
v_accvgpr_read_b32 v17, acc43                      // 
v_accvgpr_read_b32 v10, acc8                       // 
v_accvgpr_read_b32 v14, acc24                      // 
v_accvgpr_read_b32 v18, acc40                      // 
v_accvgpr_read_b32 v11, acc9                       // 
v_accvgpr_read_b32 v15, acc25                      // 
v_accvgpr_read_b32 v19, acc41                      // 
s_nop 1                                            // v_accvgpr read vgpr after write vgpr: 2 wait states
ds_bpermute_b32 v10, v6, v10, offset:128           // permute edge values
ds_bpermute_b32 v14, v6, v14, offset:128           // permute edge values
	;; [unrolled: 1-line block ×6, first 2 shown]
s_waitcnt lgkmcnt(0)                               // wait for swizzle operation
s_mov_b32 s34, 0                                   // which thread need to shfit in this block
_v_cmpx_eq_u32 s[34:35], v7, s34                   // is thread in edge glvw region
s_nop 3                                            // wait for exec mask
v_accvgpr_write_b32 acc8, v8                       // 
v_accvgpr_write_b32 acc24, v12                     // 
v_accvgpr_write_b32 acc40, v16                     // 
v_accvgpr_write_b32 acc9, v9                       // 
v_accvgpr_write_b32 acc25, v13                     // 
v_accvgpr_write_b32 acc41, v17                     // 
v_accvgpr_write_b32 acc10, v10                     // 
v_accvgpr_write_b32 acc26, v14                     // 
v_accvgpr_write_b32 acc42, v18                     // 
v_accvgpr_write_b32 acc11, v11                     // 
v_accvgpr_write_b32 acc27, v15                     // 
v_accvgpr_write_b32 acc43, v19                     // 
s_mov_b64 s[34:35], 0xFFFFFFFFFFFFFFFF             // to restore all threads active
s_or_saveexec_b64 vcc, s[34:35]                    // all threads active
s_nop 3                                            // wait for exec mask
v_accvgpr_read_b32 v8, acc10                       // 
v_accvgpr_read_b32 v12, acc26                      // 
v_accvgpr_read_b32 v16, acc42                      // 
v_accvgpr_read_b32 v9, acc11                       // 
v_accvgpr_read_b32 v13, acc27                      // 
v_accvgpr_read_b32 v17, acc43                      // 
v_accvgpr_read_b32 v10, acc12                      // 
v_accvgpr_read_b32 v14, acc28                      // 
v_accvgpr_read_b32 v18, acc44                      // 
v_accvgpr_read_b32 v11, acc13                      // 
v_accvgpr_read_b32 v15, acc29                      // 
v_accvgpr_read_b32 v19, acc45                      // 
s_nop 1                                            // v_accvgpr read vgpr after write vgpr: 2 wait states
ds_bpermute_b32 v10, v6, v10, offset:128           // permute edge values
ds_bpermute_b32 v14, v6, v14, offset:128           // permute edge values
	;; [unrolled: 1-line block ×6, first 2 shown]
s_waitcnt lgkmcnt(0)                               // wait for swizzle operation
s_mov_b32 s34, 1                                   // which thread need to shfit in this block
_v_cmpx_eq_u32 s[34:35], v7, s34                   // is thread in edge glvw region
s_nop 3                                            // wait for exec mask
v_accvgpr_write_b32 acc8, v8                       // 
v_accvgpr_write_b32 acc24, v12                     // 
v_accvgpr_write_b32 acc40, v16                     // 
v_accvgpr_write_b32 acc9, v9                       // 
v_accvgpr_write_b32 acc25, v13                     // 
v_accvgpr_write_b32 acc41, v17                     // 
v_accvgpr_write_b32 acc10, v10                     // 
v_accvgpr_write_b32 acc26, v14                     // 
v_accvgpr_write_b32 acc42, v18                     // 
v_accvgpr_write_b32 acc11, v11                     // 
v_accvgpr_write_b32 acc27, v15                     // 
v_accvgpr_write_b32 acc43, v19                     // 
s_mov_b64 s[34:35], 0xFFFFFFFFFFFFFFFF             // to restore all threads active
s_or_saveexec_b64 vcc, s[34:35]                    // all threads active
s_nop 3                                            // wait for exec mask
v_accvgpr_read_b32 v8, acc14                       // 
v_accvgpr_read_b32 v12, acc30                      // 
v_accvgpr_read_b32 v16, acc46                      // 
v_accvgpr_read_b32 v9, acc15                       // 
v_accvgpr_read_b32 v13, acc31                      // 
v_accvgpr_read_b32 v17, acc47                      // 
v_accvgpr_read_b32 v10, acc12                      // 
v_accvgpr_read_b32 v14, acc28                      // 
v_accvgpr_read_b32 v18, acc44                      // 
v_accvgpr_read_b32 v11, acc13                      // 
v_accvgpr_read_b32 v15, acc29                      // 
v_accvgpr_read_b32 v19, acc45                      // 
s_nop 1                                            // v_accvgpr read vgpr after write vgpr: 2 wait states
ds_bpermute_b32 v10, v6, v10, offset:128           // permute edge values
ds_bpermute_b32 v14, v6, v14, offset:128           // permute edge values
	;; [unrolled: 1-line block ×6, first 2 shown]
s_waitcnt lgkmcnt(0)                               // wait for swizzle operation
s_mov_b32 s34, 0                                   // which thread need to shfit in this block
_v_cmpx_eq_u32 s[34:35], v7, s34                   // is thread in edge glvw region
s_nop 3                                            // wait for exec mask
v_accvgpr_write_b32 acc12, v8                      // 
v_accvgpr_write_b32 acc28, v12                     // 
v_accvgpr_write_b32 acc44, v16                     // 
v_accvgpr_write_b32 acc13, v9                      // 
v_accvgpr_write_b32 acc29, v13                     // 
v_accvgpr_write_b32 acc45, v17                     // 
v_accvgpr_write_b32 acc14, v10                     // 
v_accvgpr_write_b32 acc30, v14                     // 
v_accvgpr_write_b32 acc46, v18                     // 
v_accvgpr_write_b32 acc15, v11                     // 
v_accvgpr_write_b32 acc31, v15                     // 
v_accvgpr_write_b32 acc47, v19                     // 
s_mov_b64 s[34:35], 0xFFFFFFFFFFFFFFFF             // to restore all threads active
s_or_saveexec_b64 vcc, s[34:35]                    // all threads active
s_nop 3                                            // wait for exec mask
v_accvgpr_read_b32 v8, acc14                       // 
v_accvgpr_read_b32 v12, acc30                      // 
v_accvgpr_read_b32 v16, acc46                      // 
v_accvgpr_read_b32 v9, acc15                       // 
v_accvgpr_read_b32 v13, acc31                      // 
v_accvgpr_read_b32 v17, acc47                      // 
s_nop 1                                            // v_accvgpr read vgpr after write vgpr: 2 wait states
s_mov_b32 s34, 1                                   // which thread need to shfit in this block
_v_cmpx_eq_u32 s[34:35], v7, s34                   // is thread in edge glvw region
s_nop 3                                            // wait for exec mask
v_accvgpr_write_b32 acc12, v8                      // 
v_accvgpr_write_b32 acc28, v12                     // 
v_accvgpr_write_b32 acc44, v16                     // 
v_accvgpr_write_b32 acc13, v9                      // 
v_accvgpr_write_b32 acc29, v13                     // 
v_accvgpr_write_b32 acc45, v17                     // 
s_mov_b64 s[34:35], 0xFFFFFFFFFFFFFFFF             // to restore all threads active
s_or_saveexec_b64 vcc, s[34:35]                    // all threads active
s_nop 3                                            // wait for exec mask
s_branch label_0076                                // done

/******************************************/
/* shift d0 shift=15 glvwblk=0            */
/******************************************/
label_0074:
v_and_b32 v6, 63, v[vgprSerial]                    // permute register between threads
v_lshlrev_b32 v6, 0x2, v6                          // permute register between threads
v_lshrrev_b32 v0, 5, v[vgprSerial]                 // v0 = v[vgprSerial] / 32
v_and_b32 v7, 1, v0                                // v7 = v0 % 2
v_accvgpr_read_b32 v8, acc1                        // 
v_accvgpr_read_b32 v12, acc17                      // 
v_accvgpr_read_b32 v16, acc33                      // 
v_accvgpr_read_b32 v9, acc2                        // 
v_accvgpr_read_b32 v13, acc18                      // 
v_accvgpr_read_b32 v17, acc34                      // 
v_accvgpr_read_b32 v10, acc3                       // 
v_accvgpr_read_b32 v14, acc19                      // 
v_accvgpr_read_b32 v18, acc35                      // 
v_accvgpr_read_b32 v11, acc0                       // 
v_accvgpr_read_b32 v15, acc16                      // 
v_accvgpr_read_b32 v19, acc32                      // 
s_nop 1                                            // v_accvgpr read vgpr after write vgpr: 2 wait states
ds_bpermute_b32 v11, v6, v11, offset:128           // permute edge values
ds_bpermute_b32 v15, v6, v15, offset:128           // permute edge values
	;; [unrolled: 1-line block ×3, first 2 shown]
s_waitcnt lgkmcnt(0)                               // wait for swizzle operation
s_mov_b32 s34, 0                                   // which thread need to shfit in this block
_v_cmpx_eq_u32 s[34:35], v7, s34                   // is thread in edge glvw region
s_nop 3                                            // wait for exec mask
v_accvgpr_write_b32 acc0, v8                       // 
v_accvgpr_write_b32 acc16, v12                     // 
v_accvgpr_write_b32 acc32, v16                     // 
v_accvgpr_write_b32 acc1, v9                       // 
v_accvgpr_write_b32 acc17, v13                     // 
v_accvgpr_write_b32 acc33, v17                     // 
v_accvgpr_write_b32 acc2, v10                      // 
v_accvgpr_write_b32 acc18, v14                     // 
v_accvgpr_write_b32 acc34, v18                     // 
v_accvgpr_write_b32 acc3, v11                      // 
v_accvgpr_write_b32 acc19, v15                     // 
v_accvgpr_write_b32 acc35, v19                     // 
s_mov_b64 s[34:35], 0xFFFFFFFFFFFFFFFF             // to restore all threads active
s_or_saveexec_b64 vcc, s[34:35]                    // all threads active
s_nop 3                                            // wait for exec mask
v_accvgpr_read_b32 v8, acc1                        // 
v_accvgpr_read_b32 v12, acc17                      // 
v_accvgpr_read_b32 v16, acc33                      // 
v_accvgpr_read_b32 v9, acc2                        // 
v_accvgpr_read_b32 v13, acc18                      // 
v_accvgpr_read_b32 v17, acc34                      // 
v_accvgpr_read_b32 v10, acc3                       // 
v_accvgpr_read_b32 v14, acc19                      // 
v_accvgpr_read_b32 v18, acc35                      // 
v_accvgpr_read_b32 v11, acc4                       // 
v_accvgpr_read_b32 v15, acc20                      // 
v_accvgpr_read_b32 v19, acc36                      // 
s_nop 1                                            // v_accvgpr read vgpr after write vgpr: 2 wait states
ds_bpermute_b32 v11, v6, v11, offset:128           // permute edge values
ds_bpermute_b32 v15, v6, v15, offset:128           // permute edge values
	;; [unrolled: 1-line block ×3, first 2 shown]
s_waitcnt lgkmcnt(0)                               // wait for swizzle operation
s_mov_b32 s34, 1                                   // which thread need to shfit in this block
_v_cmpx_eq_u32 s[34:35], v7, s34                   // is thread in edge glvw region
s_nop 3                                            // wait for exec mask
v_accvgpr_write_b32 acc0, v8                       // 
v_accvgpr_write_b32 acc16, v12                     // 
v_accvgpr_write_b32 acc32, v16                     // 
v_accvgpr_write_b32 acc1, v9                       // 
v_accvgpr_write_b32 acc17, v13                     // 
v_accvgpr_write_b32 acc33, v17                     // 
v_accvgpr_write_b32 acc2, v10                      // 
v_accvgpr_write_b32 acc18, v14                     // 
v_accvgpr_write_b32 acc34, v18                     // 
v_accvgpr_write_b32 acc3, v11                      // 
v_accvgpr_write_b32 acc19, v15                     // 
v_accvgpr_write_b32 acc35, v19                     // 
s_mov_b64 s[34:35], 0xFFFFFFFFFFFFFFFF             // to restore all threads active
s_or_saveexec_b64 vcc, s[34:35]                    // all threads active
s_nop 3                                            // wait for exec mask
v_accvgpr_read_b32 v8, acc5                        // 
v_accvgpr_read_b32 v12, acc21                      // 
v_accvgpr_read_b32 v16, acc37                      // 
v_accvgpr_read_b32 v9, acc6                        // 
v_accvgpr_read_b32 v13, acc22                      // 
v_accvgpr_read_b32 v17, acc38                      // 
v_accvgpr_read_b32 v10, acc7                       // 
v_accvgpr_read_b32 v14, acc23                      // 
v_accvgpr_read_b32 v18, acc39                      // 
v_accvgpr_read_b32 v11, acc4                       // 
v_accvgpr_read_b32 v15, acc20                      // 
v_accvgpr_read_b32 v19, acc36                      // 
s_nop 1                                            // v_accvgpr read vgpr after write vgpr: 2 wait states
ds_bpermute_b32 v11, v6, v11, offset:128           // permute edge values
ds_bpermute_b32 v15, v6, v15, offset:128           // permute edge values
ds_bpermute_b32 v19, v6, v19, offset:128           // permute edge values
s_waitcnt lgkmcnt(0)                               // wait for swizzle operation
s_mov_b32 s34, 0                                   // which thread need to shfit in this block
_v_cmpx_eq_u32 s[34:35], v7, s34                   // is thread in edge glvw region
s_nop 3                                            // wait for exec mask
v_accvgpr_write_b32 acc4, v8                       // 
v_accvgpr_write_b32 acc20, v12                     // 
v_accvgpr_write_b32 acc36, v16                     // 
v_accvgpr_write_b32 acc5, v9                       // 
v_accvgpr_write_b32 acc21, v13                     // 
v_accvgpr_write_b32 acc37, v17                     // 
v_accvgpr_write_b32 acc6, v10                      // 
v_accvgpr_write_b32 acc22, v14                     // 
v_accvgpr_write_b32 acc38, v18                     // 
v_accvgpr_write_b32 acc7, v11                      // 
v_accvgpr_write_b32 acc23, v15                     // 
v_accvgpr_write_b32 acc39, v19                     // 
s_mov_b64 s[34:35], 0xFFFFFFFFFFFFFFFF             // to restore all threads active
s_or_saveexec_b64 vcc, s[34:35]                    // all threads active
s_nop 3                                            // wait for exec mask
v_accvgpr_read_b32 v8, acc5                        // 
v_accvgpr_read_b32 v12, acc21                      // 
v_accvgpr_read_b32 v16, acc37                      // 
v_accvgpr_read_b32 v9, acc6                        // 
v_accvgpr_read_b32 v13, acc22                      // 
v_accvgpr_read_b32 v17, acc38                      // 
v_accvgpr_read_b32 v10, acc7                       // 
v_accvgpr_read_b32 v14, acc23                      // 
v_accvgpr_read_b32 v18, acc39                      // 
s_nop 1                                            // v_accvgpr read vgpr after write vgpr: 2 wait states
s_mov_b32 s34, 1                                   // which thread need to shfit in this block
_v_cmpx_eq_u32 s[34:35], v7, s34                   // is thread in edge glvw region
s_nop 3                                            // wait for exec mask
v_accvgpr_write_b32 acc4, v8                       // 
v_accvgpr_write_b32 acc20, v12                     // 
v_accvgpr_write_b32 acc36, v16                     // 
v_accvgpr_write_b32 acc5, v9                       // 
v_accvgpr_write_b32 acc21, v13                     // 
v_accvgpr_write_b32 acc37, v17                     // 
v_accvgpr_write_b32 acc6, v10                      // 
v_accvgpr_write_b32 acc22, v14                     // 
v_accvgpr_write_b32 acc38, v18                     // 
s_mov_b64 s[34:35], 0xFFFFFFFFFFFFFFFF             // to restore all threads active
s_or_saveexec_b64 vcc, s[34:35]                    // all threads active
s_nop 3                                            // wait for exec mask
s_branch label_0076                                // done

/******************************************/
/* shift d0 shift=15 glvwblk=1            */
/******************************************/
label_0075:
v_and_b32 v6, 63, v[vgprSerial]                    // permute register between threads
v_lshlrev_b32 v6, 0x2, v6                          // permute register between threads
v_lshrrev_b32 v0, 5, v[vgprSerial]                 // v0 = v[vgprSerial] / 32
v_and_b32 v7, 1, v0                                // v7 = v0 % 2
v_accvgpr_read_b32 v8, acc9                        // 
v_accvgpr_read_b32 v12, acc25                      // 
v_accvgpr_read_b32 v16, acc41                      // 
v_accvgpr_read_b32 v9, acc10                       // 
v_accvgpr_read_b32 v13, acc26                      // 
v_accvgpr_read_b32 v17, acc42                      // 
v_accvgpr_read_b32 v10, acc11                      // 
v_accvgpr_read_b32 v14, acc27                      // 
v_accvgpr_read_b32 v18, acc43                      // 
v_accvgpr_read_b32 v11, acc8                       // 
v_accvgpr_read_b32 v15, acc24                      // 
v_accvgpr_read_b32 v19, acc40                      // 
s_nop 1                                            // v_accvgpr read vgpr after write vgpr: 2 wait states
ds_bpermute_b32 v11, v6, v11, offset:128           // permute edge values
ds_bpermute_b32 v15, v6, v15, offset:128           // permute edge values
	;; [unrolled: 1-line block ×3, first 2 shown]
s_waitcnt lgkmcnt(0)                               // wait for swizzle operation
s_mov_b32 s34, 0                                   // which thread need to shfit in this block
_v_cmpx_eq_u32 s[34:35], v7, s34                   // is thread in edge glvw region
s_nop 3                                            // wait for exec mask
v_accvgpr_write_b32 acc8, v8                       // 
v_accvgpr_write_b32 acc24, v12                     // 
v_accvgpr_write_b32 acc40, v16                     // 
v_accvgpr_write_b32 acc9, v9                       // 
v_accvgpr_write_b32 acc25, v13                     // 
v_accvgpr_write_b32 acc41, v17                     // 
v_accvgpr_write_b32 acc10, v10                     // 
v_accvgpr_write_b32 acc26, v14                     // 
v_accvgpr_write_b32 acc42, v18                     // 
v_accvgpr_write_b32 acc11, v11                     // 
v_accvgpr_write_b32 acc27, v15                     // 
v_accvgpr_write_b32 acc43, v19                     // 
s_mov_b64 s[34:35], 0xFFFFFFFFFFFFFFFF             // to restore all threads active
s_or_saveexec_b64 vcc, s[34:35]                    // all threads active
s_nop 3                                            // wait for exec mask
v_accvgpr_read_b32 v8, acc9                        // 
v_accvgpr_read_b32 v12, acc25                      // 
v_accvgpr_read_b32 v16, acc41                      // 
v_accvgpr_read_b32 v9, acc10                       // 
v_accvgpr_read_b32 v13, acc26                      // 
v_accvgpr_read_b32 v17, acc42                      // 
v_accvgpr_read_b32 v10, acc11                      // 
v_accvgpr_read_b32 v14, acc27                      // 
v_accvgpr_read_b32 v18, acc43                      // 
v_accvgpr_read_b32 v11, acc12                      // 
v_accvgpr_read_b32 v15, acc28                      // 
v_accvgpr_read_b32 v19, acc44                      // 
s_nop 1                                            // v_accvgpr read vgpr after write vgpr: 2 wait states
ds_bpermute_b32 v11, v6, v11, offset:128           // permute edge values
ds_bpermute_b32 v15, v6, v15, offset:128           // permute edge values
	;; [unrolled: 1-line block ×3, first 2 shown]
s_waitcnt lgkmcnt(0)                               // wait for swizzle operation
s_mov_b32 s34, 1                                   // which thread need to shfit in this block
_v_cmpx_eq_u32 s[34:35], v7, s34                   // is thread in edge glvw region
s_nop 3                                            // wait for exec mask
v_accvgpr_write_b32 acc8, v8                       // 
v_accvgpr_write_b32 acc24, v12                     // 
v_accvgpr_write_b32 acc40, v16                     // 
v_accvgpr_write_b32 acc9, v9                       // 
v_accvgpr_write_b32 acc25, v13                     // 
v_accvgpr_write_b32 acc41, v17                     // 
v_accvgpr_write_b32 acc10, v10                     // 
v_accvgpr_write_b32 acc26, v14                     // 
v_accvgpr_write_b32 acc42, v18                     // 
v_accvgpr_write_b32 acc11, v11                     // 
v_accvgpr_write_b32 acc27, v15                     // 
v_accvgpr_write_b32 acc43, v19                     // 
s_mov_b64 s[34:35], 0xFFFFFFFFFFFFFFFF             // to restore all threads active
s_or_saveexec_b64 vcc, s[34:35]                    // all threads active
s_nop 3                                            // wait for exec mask
v_accvgpr_read_b32 v8, acc13                       // 
v_accvgpr_read_b32 v12, acc29                      // 
v_accvgpr_read_b32 v16, acc45                      // 
v_accvgpr_read_b32 v9, acc14                       // 
v_accvgpr_read_b32 v13, acc30                      // 
v_accvgpr_read_b32 v17, acc46                      // 
v_accvgpr_read_b32 v10, acc15                      // 
v_accvgpr_read_b32 v14, acc31                      // 
v_accvgpr_read_b32 v18, acc47                      // 
v_accvgpr_read_b32 v11, acc12                      // 
v_accvgpr_read_b32 v15, acc28                      // 
v_accvgpr_read_b32 v19, acc44                      // 
s_nop 1                                            // v_accvgpr read vgpr after write vgpr: 2 wait states
ds_bpermute_b32 v11, v6, v11, offset:128           // permute edge values
ds_bpermute_b32 v15, v6, v15, offset:128           // permute edge values
ds_bpermute_b32 v19, v6, v19, offset:128           // permute edge values
s_waitcnt lgkmcnt(0)                               // wait for swizzle operation
s_mov_b32 s34, 0                                   // which thread need to shfit in this block
_v_cmpx_eq_u32 s[34:35], v7, s34                   // is thread in edge glvw region
s_nop 3                                            // wait for exec mask
v_accvgpr_write_b32 acc12, v8                      // 
v_accvgpr_write_b32 acc28, v12                     // 
v_accvgpr_write_b32 acc44, v16                     // 
v_accvgpr_write_b32 acc13, v9                      // 
v_accvgpr_write_b32 acc29, v13                     // 
v_accvgpr_write_b32 acc45, v17                     // 
v_accvgpr_write_b32 acc14, v10                     // 
v_accvgpr_write_b32 acc30, v14                     // 
v_accvgpr_write_b32 acc46, v18                     // 
v_accvgpr_write_b32 acc15, v11                     // 
v_accvgpr_write_b32 acc31, v15                     // 
v_accvgpr_write_b32 acc47, v19                     // 
s_mov_b64 s[34:35], 0xFFFFFFFFFFFFFFFF             // to restore all threads active
s_or_saveexec_b64 vcc, s[34:35]                    // all threads active
s_nop 3                                            // wait for exec mask
v_accvgpr_read_b32 v8, acc13                       // 
v_accvgpr_read_b32 v12, acc29                      // 
v_accvgpr_read_b32 v16, acc45                      // 
v_accvgpr_read_b32 v9, acc14                       // 
v_accvgpr_read_b32 v13, acc30                      // 
v_accvgpr_read_b32 v17, acc46                      // 
v_accvgpr_read_b32 v10, acc15                      // 
v_accvgpr_read_b32 v14, acc31                      // 
v_accvgpr_read_b32 v18, acc47                      // 
s_nop 1                                            // v_accvgpr read vgpr after write vgpr: 2 wait states
s_mov_b32 s34, 1                                   // which thread need to shfit in this block
_v_cmpx_eq_u32 s[34:35], v7, s34                   // is thread in edge glvw region
s_nop 3                                            // wait for exec mask
v_accvgpr_write_b32 acc12, v8                      // 
v_accvgpr_write_b32 acc28, v12                     // 
v_accvgpr_write_b32 acc44, v16                     // 
v_accvgpr_write_b32 acc13, v9                      // 
v_accvgpr_write_b32 acc29, v13                     // 
v_accvgpr_write_b32 acc45, v17                     // 
v_accvgpr_write_b32 acc14, v10                     // 
v_accvgpr_write_b32 acc30, v14                     // 
v_accvgpr_write_b32 acc46, v18                     // 
s_mov_b64 s[34:35], 0xFFFFFFFFFFFFFFFF             // to restore all threads active
s_or_saveexec_b64 vcc, s[34:35]                    // all threads active
s_nop 3                                            // wait for exec mask
s_branch label_0076                                // done
label_0076: // end shift0


	;; [unrolled: 1-line block ×3, first 2 shown]
/* not-LocalSplitU: global write indices */

/* computeStoreVgprs */
v_lshrrev_b32 v4, 6, v[vgprSerial]                 // v4 = v[vgprSerial] / 64
v_lshrrev_b32 v1, 2, v4                            // v1 = v4 / 4
v_mul_lo_u32 v1, 0x20, v1                          // wave coordination offset 1
v_and_b32 v5, 31, v[vgprSerial]                    // v5 = v[vgprSerial] % 32
_v_add_lshl_u32 v1, v5, v1, 0                      // coordination 1 = vwb *(wave_id1 + tid1)
v_mul_lo_u32 v2, v1, s[sgprStrideC1J]              //  offset 1
v_mul_lo_u32 v3, v1, s[sgprStrideD1J]              //  offset 1
v_and_b32 v0, 63, v[vgprSerial]                    // v0 = v[vgprSerial] % 64
v_lshrrev_b32 v0, 5, v0                            // v0 = v0 / 32
v_lshlrev_b32 v0, 0x2, v0                          // thread0 * continuous_output
v_and_b32 v5, 3, v4                                // v5 = v4 % 4
v_mul_lo_u32 v5, 0x20, v5                          // wave coordination offset 0
_v_add_lshl_u32 v0, v5, v0, 0                      // coordination 0 = vwa *(wave_id0 + tid0)
s_mul_i32 s33, 128, s[sgprWorkGroup0]              // wgp0 * MT0
_v_add_u32 v0, s33, v0                             // coord 0 = (tid0/MI_m)*4 + waveG0*MIB_m + MT0*SG0
s_mul_i32 s33, 96, s[sgprWorkGroup1]               // wgp1 * MT1
_v_add_u32 v1, s33, v1                             // coord 1 = (tid0%MI_m) + waveG1*MIB_n + MT1*SG1
/* Store Remap Local Write address */
v_lshrrev_b32 v5, 8, v[vgprSerial]                 // v5 = v[vgprSerial] / 256
v_and_b32 v4, 255, v[vgprSerial]                   // v4 = v[vgprSerial] % 256
v_mul_lo_u32 v13, 0x20, v5                         // coord1 offset of LDS for each Wave
v_and_b32 v5, 0x1f, v[vgprSerial]                  // coord1 offset of LDS for each thread
_v_add_u32 v5, v13, v5                             // coord1 offset in MacroTile
v_mov_b32 v11, 0x84                                // lds stride = MT0 + PAD
v_mul_lo_u32 v9, v5, v11                           // lds coord1 offset = Col-id* lds stride
v_lshrrev_b32 v10, 6, v4                           // v10 = v4 / 64
v_and_b32 v4, 63, v4                               // v4 = v4 % 64
v_lshrrev_b32 v12, 0x5, v4                         // tid / matrixInstN
v_lshlrev_b32 v12, 0x2, v12                        // lds coord0 offset *= 4 (each thread hold 4 element)
v_mad_u32_u24 v12, 32, v10, v12                    // coord0 += waveCoord0 * wave M shape(blockM*MiM)
_v_add_lshl_u32 v7, v9, v12, 0x2                   // local write C address

/* Store Remap Local Read address */
v_lshrrev_b32 v5, 6, v[vgprSerial]                 // v5 = v[vgprSerial] / 64
v_and_b32 v4, 63, v[vgprSerial]                    // v4 = v[vgprSerial] % 64
v_mul_lo_u32 v13, 0x8, v5                          // coord1 offset of LDS for each Wave
v_lshrrev_b32 v10, 0x5, v4                         // tid / nThreadPerCol
_v_add_u32 v6, v13, v10                            // coord1 offset in MacroTile
v_mul_lo_u32 v9, v6, v11                           // lds coord1 offset = Col-id* lds stride
v_and_b32 v12, 0x1f, v4                            // coord0 offset of LDS for each thread
v_lshlrev_b32 v12, 0x2, v12                        // lds coord0 offset *= gwvw (each thread hold gwvw element)
_v_add_lshl_u32 v8, v9, v12, 0x2                   // local read C address

/* Store Remap global write coord0 and coord1 */
v_lshrrev_b32 v5, 8, v[vgprSerial]                 // v5 = v[vgprSerial] / 256
v_and_b32 v4, 255, v[vgprSerial]                   // v4 = v[vgprSerial] % 256
v_mul_lo_u32 v13, 0x20, v5                         // coord1 offset of global memory for each Wave
v_lshrrev_b32 v5, 6, v4                            // v5 = v4 / 64
v_and_b32 v4, 63, v4                               // v4 = v4 % 64
v_mad_u32_u24 v13, 8, v5, v13                      // waveCoord1 += waveCoord0 * MiN / WaveGroupM
v_lshrrev_b32 v10, 0x5, v4                         // tid / nThreadPerCol
_v_add_u32 v6, v13, v10                            // coord1 offset in MacroTile
s_mul_i32 s34, 0x80, s[sgprWorkGroup0]             // s34 = wg0*MT0
_v_add_co_u32 v4, vcc, s34, v12                    // coord0 = coord0 + wg0 * MT0
s_mul_i32 s35, MT1, s[sgprWorkGroup1]              // <- wg1*MT1
_v_add_co_u32 v5, vcc, s35, v6                     // coord1 = tid1*VW + wg1*MT1

s_waitcnt lgkmcnt(0) & vmcnt(0)                    // force waitcnt0
s_barrier //StoreRemap Start


/* not-LocalSplitU: global write */

s_cmpk_eq_u32 s[sgprBeta], 0x0                     // Beta == 0
s_cbranch_scc0 GW_Beta_93                          // Branch if Beta is not zero

s_and_b32 s34, 127, s[sgprSizeI]                   // s34 = s[sgprSizeI] % 128
s_add_u32 s35, -0x1, s[sgprNumWorkGroups0]         // 
s_cmp_ge_u32 s[sgprWorkGroup0], s35                // wg0 >= nwg0-1 ?
s_cselect_b32 s34, s34, 0                          // set rMT0
s_cmpk_gt_u32 s34, 0x0                             // rMT0 > 0
s_cbranch_scc1 GW_B0_E1_84                         // jump if edges required
s_mov_b32 s37, 0x0                                 // STATIC_DIV: divisior=96
s_mul_i32 s36, 0x555, s[sgprSizeJ]                 // tmp1 = dividend * magic hi
s_lshl_b64 s[36:37], s[36:37], 0x10                // left shift 16 bits
s_mul_i32 s35, s[sgprSizeJ], 0x5556                // tmp0 = dividend * magic lo
s_add_u32 s36, s35, s36                            // add lo
s_addc_u32 s37, s37, 0x0                           // add hi
s_lshr_b64 s[36:37], s[36:37], 0x21                // tmp1 = (dividend * magic) << shift
s_mov_b32 s35, s36                                 // quotient
s_mul_i32 s36, s35, 0x60                           // quotient*divisor
s_sub_u32 s34, s[sgprSizeJ], s36                   // rReg = dividend - quotient*divisor
s_add_u32 s35, -0x1, s[sgprNumWorkGroups1]         // 
s_cmp_ge_u32 s[sgprWorkGroup1], s35                // wg1 >= nwg1-1
s_cselect_b32 s34, s34, 0                          // set rMT1
s_cmpk_gt_u32 s34, 0x0                             // rMT1 > 0
s_cbranch_scc1 GW_B0_E1_84                         // jump if edges required
GW_B0_E0_81:

/* edge=0, allocate 2 sgpr. perBatchTmpS=2 perBatchMaskS=0 perElementMaskS=0 elementsPerBatch=4 */
/* optSingleColVgpr=1 optSharedColVgpr=0 optSGPRUsage=BufferLoad_Mask optSrdIncForRow=1 */

/******************************************/
/* Global Write Alpha Batch #0 (d1,d0,vc1,vc0) = */
/*    (0,0,0,0:vw4); (0,1,0,0:vw4); (0,2,0,0:vw4); (0,3,0,0:vw4) */
/******************************************/

/* calc coords, apply mask, and issue loads (if necessary) */
/* (d1,vc1,d0,vc0)=(0,0,0,0) */
/* (d1,vc1,d0,vc0)=(0,0,1,0) */
/* (d1,vc1,d0,vc0)=(0,0,2,0) */
/* (d1,vc1,d0,vc0)=(0,0,3,0) */
_v_add_lshl_u32 v9, v3, v0, 0x2                    // optSingleColVgpr scaleToBpe: sharedAddrVgpr <- cinRowPtr + coord0, scaled by BPE. BSHERE:coord0=0, coord0Vgpr=0
v_accvgpr_read_b32 v[vgprValuC+16], acc0 // copy acc to vreg[0]
v_accvgpr_read_b32 v[vgprValuC+17], acc1 // copy acc to vreg[1]
v_accvgpr_read_b32 v[vgprValuC+18], acc2 // copy acc to vreg[2]
v_accvgpr_read_b32 v[vgprValuC+19], acc3 // copy acc to vreg[3]
v_accvgpr_read_b32 v[vgprValuC+20], acc4 // copy acc to vreg[4]
v_accvgpr_read_b32 v[vgprValuC+21], acc5 // copy acc to vreg[5]
v_accvgpr_read_b32 v[vgprValuC+22], acc6 // copy acc to vreg[6]
v_accvgpr_read_b32 v[vgprValuC+23], acc7 // copy acc to vreg[7]
v_accvgpr_read_b32 v[vgprValuC+24], acc8 // copy acc to vreg[8]
v_accvgpr_read_b32 v[vgprValuC+25], acc9 // copy acc to vreg[9]
v_accvgpr_read_b32 v[vgprValuC+26], acc10 // copy acc to vreg[10]
v_accvgpr_read_b32 v[vgprValuC+27], acc11 // copy acc to vreg[11]
v_accvgpr_read_b32 v[vgprValuC+28], acc12 // copy acc to vreg[12]
v_accvgpr_read_b32 v[vgprValuC+29], acc13 // copy acc to vreg[13]
v_accvgpr_read_b32 v[vgprValuC+30], acc14 // copy acc to vreg[14]
v_accvgpr_read_b32 v[vgprValuC+31], acc15 // copy acc to vreg[15]
s_nop 1                                            // 2 wait states required before reading vgpr

/* rC *= alpha batchElements=[(0, 0, 0, 0), (0, 1, 0, 0), (0, 2, 0, 0), (0, 3, 0, 0)] */
v_mul_lo_u32 v[vgprValuC+16], s[sgprAlpha], v[vgprValuC+16] // *= alpha
v_mul_lo_u32 v[vgprValuC+17], s[sgprAlpha], v[vgprValuC+17] // *= alpha
	;; [unrolled: 1-line block ×16, first 2 shown]

/* apply mask, calc new C and issue writes */
_ds_store_b128 v7, v[16:19], offset:0              // storeRemap lw
_ds_store_b128 v7, v[20:23], offset:32             // storeRemap lw
_ds_store_b128 v7, v[24:27], offset:64             // storeRemap lw
	;; [unrolled: 1-line block ×3, first 2 shown]

/* Handle local read and global write */
s_waitcnt lgkmcnt(0)                               // wait for LDS write
s_barrier //wait all lds write finished

_ds_load_b128 v[16:19], v8, offset:0               // storeRemap lr
_ds_load_b128 v[20:23], v8, offset:1056            // storeRemap lr
_ds_load_b128 v[24:27], v8, offset:2112            // storeRemap lr
	;; [unrolled: 1-line block ×3, first 2 shown]

v_mov_b32 v13, v6                                  // coord1
v_mul_lo_u32 v13, v13, s[sgprStrideD1J]            // coord1 offset =  coord1 * StrideD
_v_add_lshl_u32 v13, v13, v4, 0x2                  // global write D address
s_waitcnt lgkmcnt(3)                               // wait for LDS read
_buffer_store_b128 v[16:19], v13, s[sgprSrdD:sgprSrdD+3], 0, offen, offset:0 // store D
_v_add_u32 v13, v6, 2                              // coord1 += nColPerLoad
v_mul_lo_u32 v13, v13, s[sgprStrideD1J]            // coord1 offset =  coord1 * StrideD
_v_add_lshl_u32 v13, v13, v4, 0x2                  // global write D address
s_waitcnt lgkmcnt(2)                               // wait for LDS read
_buffer_store_b128 v[20:23], v13, s[sgprSrdD:sgprSrdD+3], 0, offen, offset:0 // store D
_v_add_u32 v13, v6, 4                              // coord1 += nColPerLoad
	;; [unrolled: 5-line block ×3, first 2 shown]
v_mul_lo_u32 v13, v13, s[sgprStrideD1J]            // coord1 offset =  coord1 * StrideD
_v_add_lshl_u32 v13, v13, v4, 0x2                  // global write D address
s_waitcnt lgkmcnt(0)                               // wait for LDS read
_buffer_store_b128 v[28:31], v13, s[sgprSrdD:sgprSrdD+3], 0, offen, offset:0 // store D

s_barrier //wait all lds read finished
s_nop 0                                            // 1 wait state required when next inst writes vgprs held by previous dwordx4 store inst
/* optSingleColVgpr=1 optSharedColVgpr=0 optSGPRUsage=BufferLoad_Mask optSrdIncForRow=1 */

/******************************************/
/* Global Write Alpha Batch #1 (d1,d0,vc1,vc0) = */
/*    (1,0,0,0:vw4); (1,1,0,0:vw4); (1,2,0,0:vw4); (1,3,0,0:vw4) */
/******************************************/

/* calc coords, apply mask, and issue loads (if necessary) */
/* (d1,vc1,d0,vc0)=(1,0,0,0) */
/* (d1,vc1,d0,vc0)=(1,0,1,0) */
	;; [unrolled: 1-line block ×4, first 2 shown]
v_accvgpr_read_b32 v[vgprValuC+16], acc16 // copy acc to vreg[16]
v_accvgpr_read_b32 v[vgprValuC+17], acc17 // copy acc to vreg[17]
v_accvgpr_read_b32 v[vgprValuC+18], acc18 // copy acc to vreg[18]
v_accvgpr_read_b32 v[vgprValuC+19], acc19 // copy acc to vreg[19]
v_accvgpr_read_b32 v[vgprValuC+20], acc20 // copy acc to vreg[20]
v_accvgpr_read_b32 v[vgprValuC+21], acc21 // copy acc to vreg[21]
v_accvgpr_read_b32 v[vgprValuC+22], acc22 // copy acc to vreg[22]
v_accvgpr_read_b32 v[vgprValuC+23], acc23 // copy acc to vreg[23]
v_accvgpr_read_b32 v[vgprValuC+24], acc24 // copy acc to vreg[24]
v_accvgpr_read_b32 v[vgprValuC+25], acc25 // copy acc to vreg[25]
v_accvgpr_read_b32 v[vgprValuC+26], acc26 // copy acc to vreg[26]
v_accvgpr_read_b32 v[vgprValuC+27], acc27 // copy acc to vreg[27]
v_accvgpr_read_b32 v[vgprValuC+28], acc28 // copy acc to vreg[28]
v_accvgpr_read_b32 v[vgprValuC+29], acc29 // copy acc to vreg[29]
v_accvgpr_read_b32 v[vgprValuC+30], acc30 // copy acc to vreg[30]
v_accvgpr_read_b32 v[vgprValuC+31], acc31 // copy acc to vreg[31]
s_nop 1                                            // 2 wait states required before reading vgpr

/* rC *= alpha batchElements=[(1, 0, 0, 0), (1, 1, 0, 0), (1, 2, 0, 0), (1, 3, 0, 0)] */
v_mul_lo_u32 v[vgprValuC+16], s[sgprAlpha], v[vgprValuC+16] // *= alpha
v_mul_lo_u32 v[vgprValuC+17], s[sgprAlpha], v[vgprValuC+17] // *= alpha
	;; [unrolled: 1-line block ×16, first 2 shown]

/* apply mask, calc new C and issue writes */

/* StoreRemap: shift coord1 address */
s_mul_i32 s34, s[sgprStrideD1J], 128               // scale StrideD *= numRows(32) * bpe
s_add_u32  s[sgprSrdD+0], s[sgprSrdD+0], s34       // incToNextRow: gra SRD += inc(lower)
s_addc_u32  s[sgprSrdD+1], s[sgprSrdD+1], 0        // incToNextRow: gra SRD += inc(upper)
v_mov_b32 v10, 32                                  // set shift rows
_v_add_u32 v5, v5, v10                             // shift storeRemap coord1
_ds_store_b128 v7, v[16:19], offset:0              // storeRemap lw
_ds_store_b128 v7, v[20:23], offset:32             // storeRemap lw
_ds_store_b128 v7, v[24:27], offset:64             // storeRemap lw
	;; [unrolled: 1-line block ×3, first 2 shown]

/* Handle local read and global write */
s_waitcnt lgkmcnt(0)                               // wait for LDS write
s_barrier //wait all lds write finished

_ds_load_b128 v[16:19], v8, offset:0               // storeRemap lr
_ds_load_b128 v[20:23], v8, offset:1056            // storeRemap lr
_ds_load_b128 v[24:27], v8, offset:2112            // storeRemap lr
	;; [unrolled: 1-line block ×3, first 2 shown]

v_mov_b32 v13, v6                                  // coord1
v_mul_lo_u32 v13, v13, s[sgprStrideD1J]            // coord1 offset =  coord1 * StrideD
_v_add_lshl_u32 v13, v13, v4, 0x2                  // global write D address
s_waitcnt lgkmcnt(3)                               // wait for LDS read
_buffer_store_b128 v[16:19], v13, s[sgprSrdD:sgprSrdD+3], 0, offen, offset:0 // store D
_v_add_u32 v13, v6, 2                              // coord1 += nColPerLoad
v_mul_lo_u32 v13, v13, s[sgprStrideD1J]            // coord1 offset =  coord1 * StrideD
_v_add_lshl_u32 v13, v13, v4, 0x2                  // global write D address
s_waitcnt lgkmcnt(2)                               // wait for LDS read
_buffer_store_b128 v[20:23], v13, s[sgprSrdD:sgprSrdD+3], 0, offen, offset:0 // store D
_v_add_u32 v13, v6, 4                              // coord1 += nColPerLoad
	;; [unrolled: 5-line block ×3, first 2 shown]
v_mul_lo_u32 v13, v13, s[sgprStrideD1J]            // coord1 offset =  coord1 * StrideD
_v_add_lshl_u32 v13, v13, v4, 0x2                  // global write D address
s_waitcnt lgkmcnt(0)                               // wait for LDS read
_buffer_store_b128 v[28:31], v13, s[sgprSrdD:sgprSrdD+3], 0, offen, offset:0 // store D

s_barrier //wait all lds read finished
s_nop 0                                            // 1 wait state required when next inst writes vgprs held by previous dwordx4 store inst
/* optSingleColVgpr=1 optSharedColVgpr=0 optSGPRUsage=BufferLoad_Mask optSrdIncForRow=1 */

/******************************************/
/* Global Write Alpha Batch #2 (d1,d0,vc1,vc0) = */
/*    (2,0,0,0:vw4); (2,1,0,0:vw4); (2,2,0,0:vw4); (2,3,0,0:vw4) */
/******************************************/

/* calc coords, apply mask, and issue loads (if necessary) */
/* (d1,vc1,d0,vc0)=(2,0,0,0) */
/* (d1,vc1,d0,vc0)=(2,0,1,0) */
	;; [unrolled: 1-line block ×4, first 2 shown]
v_accvgpr_read_b32 v[vgprValuC+16], acc32 // copy acc to vreg[32]
v_accvgpr_read_b32 v[vgprValuC+17], acc33 // copy acc to vreg[33]
v_accvgpr_read_b32 v[vgprValuC+18], acc34 // copy acc to vreg[34]
v_accvgpr_read_b32 v[vgprValuC+19], acc35 // copy acc to vreg[35]
v_accvgpr_read_b32 v[vgprValuC+20], acc36 // copy acc to vreg[36]
v_accvgpr_read_b32 v[vgprValuC+21], acc37 // copy acc to vreg[37]
v_accvgpr_read_b32 v[vgprValuC+22], acc38 // copy acc to vreg[38]
v_accvgpr_read_b32 v[vgprValuC+23], acc39 // copy acc to vreg[39]
v_accvgpr_read_b32 v[vgprValuC+24], acc40 // copy acc to vreg[40]
v_accvgpr_read_b32 v[vgprValuC+25], acc41 // copy acc to vreg[41]
v_accvgpr_read_b32 v[vgprValuC+26], acc42 // copy acc to vreg[42]
v_accvgpr_read_b32 v[vgprValuC+27], acc43 // copy acc to vreg[43]
v_accvgpr_read_b32 v[vgprValuC+28], acc44 // copy acc to vreg[44]
v_accvgpr_read_b32 v[vgprValuC+29], acc45 // copy acc to vreg[45]
v_accvgpr_read_b32 v[vgprValuC+30], acc46 // copy acc to vreg[46]
v_accvgpr_read_b32 v[vgprValuC+31], acc47 // copy acc to vreg[47]
s_nop 1                                            // 2 wait states required before reading vgpr

/* rC *= alpha batchElements=[(2, 0, 0, 0), (2, 1, 0, 0), (2, 2, 0, 0), (2, 3, 0, 0)] */
v_mul_lo_u32 v[vgprValuC+16], s[sgprAlpha], v[vgprValuC+16] // *= alpha
v_mul_lo_u32 v[vgprValuC+17], s[sgprAlpha], v[vgprValuC+17] // *= alpha
	;; [unrolled: 1-line block ×16, first 2 shown]

/* apply mask, calc new C and issue writes */

/* StoreRemap: shift coord1 address */
s_mul_i32 s34, s[sgprStrideD1J], 128               // scale StrideD *= numRows(32) * bpe
s_add_u32  s[sgprSrdD+0], s[sgprSrdD+0], s34       // incToNextRow: gra SRD += inc(lower)
s_addc_u32  s[sgprSrdD+1], s[sgprSrdD+1], 0        // incToNextRow: gra SRD += inc(upper)
v_mov_b32 v10, 32                                  // set shift rows
_v_add_u32 v5, v5, v10                             // shift storeRemap coord1
_ds_store_b128 v7, v[16:19], offset:0              // storeRemap lw
_ds_store_b128 v7, v[20:23], offset:32             // storeRemap lw
_ds_store_b128 v7, v[24:27], offset:64             // storeRemap lw
	;; [unrolled: 1-line block ×3, first 2 shown]

/* Handle local read and global write */
s_waitcnt lgkmcnt(0)                               // wait for LDS write
s_barrier //wait all lds write finished

_ds_load_b128 v[16:19], v8, offset:0               // storeRemap lr
_ds_load_b128 v[20:23], v8, offset:1056            // storeRemap lr
_ds_load_b128 v[24:27], v8, offset:2112            // storeRemap lr
	;; [unrolled: 1-line block ×3, first 2 shown]

v_mov_b32 v13, v6                                  // coord1
v_mul_lo_u32 v13, v13, s[sgprStrideD1J]            // coord1 offset =  coord1 * StrideD
_v_add_lshl_u32 v13, v13, v4, 0x2                  // global write D address
s_waitcnt lgkmcnt(3)                               // wait for LDS read
_buffer_store_b128 v[16:19], v13, s[sgprSrdD:sgprSrdD+3], 0, offen, offset:0 // store D
_v_add_u32 v13, v6, 2                              // coord1 += nColPerLoad
v_mul_lo_u32 v13, v13, s[sgprStrideD1J]            // coord1 offset =  coord1 * StrideD
_v_add_lshl_u32 v13, v13, v4, 0x2                  // global write D address
s_waitcnt lgkmcnt(2)                               // wait for LDS read
_buffer_store_b128 v[20:23], v13, s[sgprSrdD:sgprSrdD+3], 0, offen, offset:0 // store D
_v_add_u32 v13, v6, 4                              // coord1 += nColPerLoad
	;; [unrolled: 5-line block ×3, first 2 shown]
v_mul_lo_u32 v13, v13, s[sgprStrideD1J]            // coord1 offset =  coord1 * StrideD
_v_add_lshl_u32 v13, v13, v4, 0x2                  // global write D address
s_waitcnt lgkmcnt(0)                               // wait for LDS read
_buffer_store_b128 v[28:31], v13, s[sgprSrdD:sgprSrdD+3], 0, offen, offset:0 // store D

s_barrier //wait all lds read finished
s_nop 0                                            // 1 wait state required when next inst writes vgprs held by previous dwordx4 store inst
s_branch label_GW_End_92                           // jump to end
GW_B0_E1_84:

/* edge=0, allocate 6 sgpr. perBatchTmpS=4 perBatchMaskS=2 perElementMaskS=0 elementsPerBatch=4 */
/* optSingleColVgpr=0 optSharedColVgpr=0 optSGPRUsage=BufferLoad_Edge_Mask optSrdIncForRow=1 */

/******************************************/
/* Global Write Alpha Edge Batch #0 (d1,d0,vc1,vc0) = */
/*    (0,0,0,0:vw4); (0,1,0,0:vw4); (0,2,0,0:vw4); (0,3,0,0:vw4) */
/******************************************/

/* calc coords, apply mask, and issue loads (if necessary) */
/* (d1,vc1,d0,vc0)=(0,0,0,0) */
_v_add_lshl_u32 v9, v3, v0, 0x2                    // scaleToBpe: accumulate d0 lower and *= bpe into Cin addr
/* (d1,vc1,d0,vc0)=(0,0,1,0) */
_v_add_co_u32 v10, vcc, v0, 8                      // coord0.1: coord0 += d0*sg0*VW + vc0
_v_add_lshl_u32 v16, v3, v10, 0x2                  // scaleToBpe: accumulate d0 lower and *= bpe into Cin addr
/* (d1,vc1,d0,vc0)=(0,0,2,0) */
_v_add_co_u32 v10, vcc, v0, 16                     // coord0.1: coord0 += d0*sg0*VW + vc0
_v_add_lshl_u32 v17, v3, v10, 0x2                  // scaleToBpe: accumulate d0 lower and *= bpe into Cin addr
/* (d1,vc1,d0,vc0)=(0,0,3,0) */
_v_add_co_u32 v10, vcc, v0, 24                     // coord0.1: coord0 += d0*sg0*VW + vc0
_v_add_lshl_u32 v18, v3, v10, 0x2                  // scaleToBpe: accumulate d0 lower and *= bpe into Cin addr
v_accvgpr_read_b32 v[vgprValuC+12], acc0 // copy acc to vreg[0]
v_accvgpr_read_b32 v[vgprValuC+13], acc1 // copy acc to vreg[1]
v_accvgpr_read_b32 v[vgprValuC+14], acc2 // copy acc to vreg[2]
v_accvgpr_read_b32 v[vgprValuC+15], acc3 // copy acc to vreg[3]
v_accvgpr_read_b32 v[vgprValuC+20], acc4 // copy acc to vreg[4]
v_accvgpr_read_b32 v[vgprValuC+21], acc5 // copy acc to vreg[5]
v_accvgpr_read_b32 v[vgprValuC+22], acc6 // copy acc to vreg[6]
v_accvgpr_read_b32 v[vgprValuC+23], acc7 // copy acc to vreg[7]
v_accvgpr_read_b32 v[vgprValuC+24], acc8 // copy acc to vreg[8]
v_accvgpr_read_b32 v[vgprValuC+25], acc9 // copy acc to vreg[9]
v_accvgpr_read_b32 v[vgprValuC+26], acc10 // copy acc to vreg[10]
v_accvgpr_read_b32 v[vgprValuC+27], acc11 // copy acc to vreg[11]
v_accvgpr_read_b32 v[vgprValuC+28], acc12 // copy acc to vreg[12]
v_accvgpr_read_b32 v[vgprValuC+29], acc13 // copy acc to vreg[13]
v_accvgpr_read_b32 v[vgprValuC+30], acc14 // copy acc to vreg[14]
v_accvgpr_read_b32 v[vgprValuC+31], acc15 // copy acc to vreg[15]
s_nop 1                                            // 2 wait states required before reading vgpr

/* rC *= alpha batchElements=[(0, 0, 0, 0), (0, 1, 0, 0), (0, 2, 0, 0), (0, 3, 0, 0)] */
v_mul_lo_u32 v[vgprValuC+12], s[sgprAlpha], v[vgprValuC+12] // *= alpha
v_mul_lo_u32 v[vgprValuC+13], s[sgprAlpha], v[vgprValuC+13] // *= alpha
	;; [unrolled: 1-line block ×16, first 2 shown]

/* apply mask, calc new C and issue writes */
_ds_store_b128 v7, v[12:15], offset:0              // storeRemap lw
_ds_store_b128 v7, v[20:23], offset:32             // storeRemap lw
_ds_store_b128 v7, v[24:27], offset:64             // storeRemap lw
	;; [unrolled: 1-line block ×3, first 2 shown]

/* Handle local read and global write */
s_waitcnt lgkmcnt(0)                               // wait for LDS write
s_barrier //wait all lds write finished

_ds_load_b128 v[12:15], v8, offset:0               // storeRemap lr
_ds_load_b128 v[16:19], v8, offset:1056            // storeRemap lr
_ds_load_b128 v[20:23], v8, offset:2112            // storeRemap lr
	;; [unrolled: 1-line block ×3, first 2 shown]

s_waitcnt lgkmcnt(3)                               // wait for LDS read
_v_add_u32 v11, v5, 0                              // coord1 += nColPerLoad
_v_add_u32 v10, v4, 0                              // coord0 += element index of load vector
_v_add_u32 v9, v6, 0                               // offset coord1 += nColPerLoad
v_cmp_lt_u32 s[34:35], v10, s[sgprSizeI]           // coord0 < size0
v_cmp_lt_u32 s[36:37], v11, s[sgprSizeJ]           // coord1 < size1
s_and_b64 s[36:37], s[34:35], s[36:37]             // in0 && in1
v_mul_lo_u32 v9, v9, s[sgprStrideD1J]              // coord1 element offset =  coord1 * StrideD
_v_add_lshl_u32 v9, v9, v10, 0x2                   // scale to BPE
v_cndmask_b32 v9, -1, v9, s[36:37]                 // clip if OOB. offset
_buffer_store_b128 v[12:15], v9, s[sgprSrdD:sgprSrdD+3], 0, offen, offset:0 // store D
s_waitcnt lgkmcnt(2)                               // wait for LDS read
_v_add_u32 v11, v5, 2                              // coord1 += nColPerLoad
_v_add_u32 v10, v4, 0                              // coord0 += element index of load vector
_v_add_u32 v9, v6, 2                               // offset coord1 += nColPerLoad
v_cmp_lt_u32 s[34:35], v10, s[sgprSizeI]           // coord0 < size0
v_cmp_lt_u32 s[36:37], v11, s[sgprSizeJ]           // coord1 < size1
s_and_b64 s[36:37], s[34:35], s[36:37]             // in0 && in1
v_mul_lo_u32 v9, v9, s[sgprStrideD1J]              // coord1 element offset =  coord1 * StrideD
_v_add_lshl_u32 v9, v9, v10, 0x2                   // scale to BPE
v_cndmask_b32 v9, -1, v9, s[36:37]                 // clip if OOB. offset
_buffer_store_b128 v[16:19], v9, s[sgprSrdD:sgprSrdD+3], 0, offen, offset:0 // store D
	;; [unrolled: 11-line block ×4, first 2 shown]

s_barrier //wait all lds read finished
s_nop 0                                            // 1 wait state required when next inst writes vgprs held by previous dwordx4 store inst
/* optSingleColVgpr=0 optSharedColVgpr=0 optSGPRUsage=BufferLoad_Edge_Mask optSrdIncForRow=1 */

/******************************************/
/* Global Write Alpha Edge Batch #1 (d1,d0,vc1,vc0) = */
/*    (1,0,0,0:vw4); (1,1,0,0:vw4); (1,2,0,0:vw4); (1,3,0,0:vw4) */
/******************************************/

/* calc coords, apply mask, and issue loads (if necessary) */
/* (d1,vc1,d0,vc0)=(1,0,0,0) */
_v_add_co_u32 v1, vcc, v1, 32                      // coord1.1: coord1Vgpr += d1*sg1*VW + vc1
_v_add_lshl_u32 v9, v3, v0, 0x2                    // scaleToBpe: accumulate d0 lower and *= bpe into Cin addr
/* (d1,vc1,d0,vc0)=(1,0,1,0) */
_v_add_co_u32 v10, vcc, v0, 8                      // coord0.1: coord0 += d0*sg0*VW + vc0
_v_add_lshl_u32 v16, v3, v10, 0x2                  // scaleToBpe: accumulate d0 lower and *= bpe into Cin addr
/* (d1,vc1,d0,vc0)=(1,0,2,0) */
_v_add_co_u32 v10, vcc, v0, 16                     // coord0.1: coord0 += d0*sg0*VW + vc0
_v_add_lshl_u32 v17, v3, v10, 0x2                  // scaleToBpe: accumulate d0 lower and *= bpe into Cin addr
/* (d1,vc1,d0,vc0)=(1,0,3,0) */
_v_add_co_u32 v10, vcc, v0, 24                     // coord0.1: coord0 += d0*sg0*VW + vc0
_v_add_lshl_u32 v18, v3, v10, 0x2                  // scaleToBpe: accumulate d0 lower and *= bpe into Cin addr
v_accvgpr_read_b32 v[vgprValuC+12], acc16 // copy acc to vreg[16]
v_accvgpr_read_b32 v[vgprValuC+13], acc17 // copy acc to vreg[17]
v_accvgpr_read_b32 v[vgprValuC+14], acc18 // copy acc to vreg[18]
v_accvgpr_read_b32 v[vgprValuC+15], acc19 // copy acc to vreg[19]
v_accvgpr_read_b32 v[vgprValuC+20], acc20 // copy acc to vreg[20]
v_accvgpr_read_b32 v[vgprValuC+21], acc21 // copy acc to vreg[21]
v_accvgpr_read_b32 v[vgprValuC+22], acc22 // copy acc to vreg[22]
v_accvgpr_read_b32 v[vgprValuC+23], acc23 // copy acc to vreg[23]
v_accvgpr_read_b32 v[vgprValuC+24], acc24 // copy acc to vreg[24]
v_accvgpr_read_b32 v[vgprValuC+25], acc25 // copy acc to vreg[25]
v_accvgpr_read_b32 v[vgprValuC+26], acc26 // copy acc to vreg[26]
v_accvgpr_read_b32 v[vgprValuC+27], acc27 // copy acc to vreg[27]
v_accvgpr_read_b32 v[vgprValuC+28], acc28 // copy acc to vreg[28]
v_accvgpr_read_b32 v[vgprValuC+29], acc29 // copy acc to vreg[29]
v_accvgpr_read_b32 v[vgprValuC+30], acc30 // copy acc to vreg[30]
v_accvgpr_read_b32 v[vgprValuC+31], acc31 // copy acc to vreg[31]
s_nop 1                                            // 2 wait states required before reading vgpr

/* rC *= alpha batchElements=[(1, 0, 0, 0), (1, 1, 0, 0), (1, 2, 0, 0), (1, 3, 0, 0)] */
v_mul_lo_u32 v[vgprValuC+12], s[sgprAlpha], v[vgprValuC+12] // *= alpha
v_mul_lo_u32 v[vgprValuC+13], s[sgprAlpha], v[vgprValuC+13] // *= alpha
	;; [unrolled: 1-line block ×16, first 2 shown]

/* apply mask, calc new C and issue writes */

/* StoreRemap: shift coord1 address */
s_mul_i32 s34, s[sgprStrideD1J], 128               // scale StrideD *= numRows(32) * bpe
s_add_u32  s[sgprSrdD+0], s[sgprSrdD+0], s34       // incToNextRow: gra SRD += inc(lower)
s_addc_u32  s[sgprSrdD+1], s[sgprSrdD+1], 0        // incToNextRow: gra SRD += inc(upper)
v_mov_b32 v10, 32                                  // set shift rows
_v_add_u32 v5, v5, v10                             // shift storeRemap coord1
_ds_store_b128 v7, v[12:15], offset:0              // storeRemap lw
_ds_store_b128 v7, v[20:23], offset:32             // storeRemap lw
_ds_store_b128 v7, v[24:27], offset:64             // storeRemap lw
_ds_store_b128 v7, v[28:31], offset:96             // storeRemap lw

/* Handle local read and global write */
s_waitcnt lgkmcnt(0)                               // wait for LDS write
s_barrier //wait all lds write finished

_ds_load_b128 v[12:15], v8, offset:0               // storeRemap lr
_ds_load_b128 v[16:19], v8, offset:1056            // storeRemap lr
_ds_load_b128 v[20:23], v8, offset:2112            // storeRemap lr
	;; [unrolled: 1-line block ×3, first 2 shown]

s_waitcnt lgkmcnt(3)                               // wait for LDS read
_v_add_u32 v11, v5, 0                              // coord1 += nColPerLoad
_v_add_u32 v10, v4, 0                              // coord0 += element index of load vector
_v_add_u32 v9, v6, 0                               // offset coord1 += nColPerLoad
v_cmp_lt_u32 s[34:35], v10, s[sgprSizeI]           // coord0 < size0
v_cmp_lt_u32 s[36:37], v11, s[sgprSizeJ]           // coord1 < size1
s_and_b64 s[36:37], s[34:35], s[36:37]             // in0 && in1
v_mul_lo_u32 v9, v9, s[sgprStrideD1J]              // coord1 element offset =  coord1 * StrideD
_v_add_lshl_u32 v9, v9, v10, 0x2                   // scale to BPE
v_cndmask_b32 v9, -1, v9, s[36:37]                 // clip if OOB. offset
_buffer_store_b128 v[12:15], v9, s[sgprSrdD:sgprSrdD+3], 0, offen, offset:0 // store D
s_waitcnt lgkmcnt(2)                               // wait for LDS read
_v_add_u32 v11, v5, 2                              // coord1 += nColPerLoad
_v_add_u32 v10, v4, 0                              // coord0 += element index of load vector
_v_add_u32 v9, v6, 2                               // offset coord1 += nColPerLoad
v_cmp_lt_u32 s[34:35], v10, s[sgprSizeI]           // coord0 < size0
v_cmp_lt_u32 s[36:37], v11, s[sgprSizeJ]           // coord1 < size1
s_and_b64 s[36:37], s[34:35], s[36:37]             // in0 && in1
v_mul_lo_u32 v9, v9, s[sgprStrideD1J]              // coord1 element offset =  coord1 * StrideD
_v_add_lshl_u32 v9, v9, v10, 0x2                   // scale to BPE
v_cndmask_b32 v9, -1, v9, s[36:37]                 // clip if OOB. offset
_buffer_store_b128 v[16:19], v9, s[sgprSrdD:sgprSrdD+3], 0, offen, offset:0 // store D
	;; [unrolled: 11-line block ×4, first 2 shown]

s_barrier //wait all lds read finished
s_nop 0                                            // 1 wait state required when next inst writes vgprs held by previous dwordx4 store inst
/* optSingleColVgpr=0 optSharedColVgpr=0 optSGPRUsage=BufferLoad_Edge_Mask optSrdIncForRow=1 */

/******************************************/
/* Global Write Alpha Edge Batch #2 (d1,d0,vc1,vc0) = */
/*    (2,0,0,0:vw4); (2,1,0,0:vw4); (2,2,0,0:vw4); (2,3,0,0:vw4) */
/******************************************/

/* calc coords, apply mask, and issue loads (if necessary) */
/* (d1,vc1,d0,vc0)=(2,0,0,0) */
_v_add_co_u32 v1, vcc, v1, 32                      // coord1.1: coord1Vgpr += d1*sg1*VW + vc1
_v_add_lshl_u32 v9, v3, v0, 0x2                    // scaleToBpe: accumulate d0 lower and *= bpe into Cin addr
/* (d1,vc1,d0,vc0)=(2,0,1,0) */
_v_add_co_u32 v10, vcc, v0, 8                      // coord0.1: coord0 += d0*sg0*VW + vc0
_v_add_lshl_u32 v16, v3, v10, 0x2                  // scaleToBpe: accumulate d0 lower and *= bpe into Cin addr
/* (d1,vc1,d0,vc0)=(2,0,2,0) */
_v_add_co_u32 v10, vcc, v0, 16                     // coord0.1: coord0 += d0*sg0*VW + vc0
_v_add_lshl_u32 v17, v3, v10, 0x2                  // scaleToBpe: accumulate d0 lower and *= bpe into Cin addr
/* (d1,vc1,d0,vc0)=(2,0,3,0) */
_v_add_co_u32 v10, vcc, v0, 24                     // coord0.1: coord0 += d0*sg0*VW + vc0
_v_add_lshl_u32 v18, v3, v10, 0x2                  // scaleToBpe: accumulate d0 lower and *= bpe into Cin addr
v_accvgpr_read_b32 v[vgprValuC+12], acc32 // copy acc to vreg[32]
v_accvgpr_read_b32 v[vgprValuC+13], acc33 // copy acc to vreg[33]
v_accvgpr_read_b32 v[vgprValuC+14], acc34 // copy acc to vreg[34]
v_accvgpr_read_b32 v[vgprValuC+15], acc35 // copy acc to vreg[35]
v_accvgpr_read_b32 v[vgprValuC+20], acc36 // copy acc to vreg[36]
v_accvgpr_read_b32 v[vgprValuC+21], acc37 // copy acc to vreg[37]
v_accvgpr_read_b32 v[vgprValuC+22], acc38 // copy acc to vreg[38]
v_accvgpr_read_b32 v[vgprValuC+23], acc39 // copy acc to vreg[39]
v_accvgpr_read_b32 v[vgprValuC+24], acc40 // copy acc to vreg[40]
v_accvgpr_read_b32 v[vgprValuC+25], acc41 // copy acc to vreg[41]
v_accvgpr_read_b32 v[vgprValuC+26], acc42 // copy acc to vreg[42]
v_accvgpr_read_b32 v[vgprValuC+27], acc43 // copy acc to vreg[43]
v_accvgpr_read_b32 v[vgprValuC+28], acc44 // copy acc to vreg[44]
v_accvgpr_read_b32 v[vgprValuC+29], acc45 // copy acc to vreg[45]
v_accvgpr_read_b32 v[vgprValuC+30], acc46 // copy acc to vreg[46]
v_accvgpr_read_b32 v[vgprValuC+31], acc47 // copy acc to vreg[47]
s_nop 1                                            // 2 wait states required before reading vgpr

/* rC *= alpha batchElements=[(2, 0, 0, 0), (2, 1, 0, 0), (2, 2, 0, 0), (2, 3, 0, 0)] */
v_mul_lo_u32 v[vgprValuC+12], s[sgprAlpha], v[vgprValuC+12] // *= alpha
v_mul_lo_u32 v[vgprValuC+13], s[sgprAlpha], v[vgprValuC+13] // *= alpha
	;; [unrolled: 1-line block ×16, first 2 shown]

/* apply mask, calc new C and issue writes */

/* StoreRemap: shift coord1 address */
s_mul_i32 s34, s[sgprStrideD1J], 128               // scale StrideD *= numRows(32) * bpe
s_add_u32  s[sgprSrdD+0], s[sgprSrdD+0], s34       // incToNextRow: gra SRD += inc(lower)
s_addc_u32  s[sgprSrdD+1], s[sgprSrdD+1], 0        // incToNextRow: gra SRD += inc(upper)
v_mov_b32 v10, 32                                  // set shift rows
_v_add_u32 v5, v5, v10                             // shift storeRemap coord1
_ds_store_b128 v7, v[12:15], offset:0              // storeRemap lw
_ds_store_b128 v7, v[20:23], offset:32             // storeRemap lw
_ds_store_b128 v7, v[24:27], offset:64             // storeRemap lw
_ds_store_b128 v7, v[28:31], offset:96             // storeRemap lw

/* Handle local read and global write */
s_waitcnt lgkmcnt(0)                               // wait for LDS write
s_barrier //wait all lds write finished

_ds_load_b128 v[12:15], v8, offset:0               // storeRemap lr
_ds_load_b128 v[16:19], v8, offset:1056            // storeRemap lr
_ds_load_b128 v[20:23], v8, offset:2112            // storeRemap lr
	;; [unrolled: 1-line block ×3, first 2 shown]

s_waitcnt lgkmcnt(3)                               // wait for LDS read
_v_add_u32 v11, v5, 0                              // coord1 += nColPerLoad
_v_add_u32 v10, v4, 0                              // coord0 += element index of load vector
_v_add_u32 v9, v6, 0                               // offset coord1 += nColPerLoad
v_cmp_lt_u32 s[34:35], v10, s[sgprSizeI]           // coord0 < size0
v_cmp_lt_u32 s[36:37], v11, s[sgprSizeJ]           // coord1 < size1
s_and_b64 s[36:37], s[34:35], s[36:37]             // in0 && in1
v_mul_lo_u32 v9, v9, s[sgprStrideD1J]              // coord1 element offset =  coord1 * StrideD
_v_add_lshl_u32 v9, v9, v10, 0x2                   // scale to BPE
v_cndmask_b32 v9, -1, v9, s[36:37]                 // clip if OOB. offset
_buffer_store_b128 v[12:15], v9, s[sgprSrdD:sgprSrdD+3], 0, offen, offset:0 // store D
s_waitcnt lgkmcnt(2)                               // wait for LDS read
_v_add_u32 v11, v5, 2                              // coord1 += nColPerLoad
_v_add_u32 v10, v4, 0                              // coord0 += element index of load vector
_v_add_u32 v9, v6, 2                               // offset coord1 += nColPerLoad
v_cmp_lt_u32 s[34:35], v10, s[sgprSizeI]           // coord0 < size0
v_cmp_lt_u32 s[36:37], v11, s[sgprSizeJ]           // coord1 < size1
s_and_b64 s[36:37], s[34:35], s[36:37]             // in0 && in1
v_mul_lo_u32 v9, v9, s[sgprStrideD1J]              // coord1 element offset =  coord1 * StrideD
_v_add_lshl_u32 v9, v9, v10, 0x2                   // scale to BPE
v_cndmask_b32 v9, -1, v9, s[36:37]                 // clip if OOB. offset
_buffer_store_b128 v[16:19], v9, s[sgprSrdD:sgprSrdD+3], 0, offen, offset:0 // store D
	;; [unrolled: 11-line block ×4, first 2 shown]

s_barrier //wait all lds read finished
s_nop 0                                            // 1 wait state required when next inst writes vgprs held by previous dwordx4 store inst
s_branch label_GW_End_92                           // jump to end
GW_Beta_93:
s_and_b32 s34, 127, s[sgprSizeI]                   // s34 = s[sgprSizeI] % 128
s_add_u32 s35, -0x1, s[sgprNumWorkGroups0]         // 
s_cmp_ge_u32 s[sgprWorkGroup0], s35                // wg0 >= nwg0-1 ?
s_cselect_b32 s34, s34, 0                          // set rMT0
s_cmpk_gt_u32 s34, 0x0                             // rMT0 > 0
s_cbranch_scc1 GW_B1_E1_91                         // jump if edges required
s_mov_b32 s37, 0x0                                 // STATIC_DIV: divisior=96
s_mul_i32 s36, 0x555, s[sgprSizeJ]                 // tmp1 = dividend * magic hi
s_lshl_b64 s[36:37], s[36:37], 0x10                // left shift 16 bits
s_mul_i32 s35, s[sgprSizeJ], 0x5556                // tmp0 = dividend * magic lo
s_add_u32 s36, s35, s36                            // add lo
s_addc_u32 s37, s37, 0x0                           // add hi
s_lshr_b64 s[36:37], s[36:37], 0x21                // tmp1 = (dividend * magic) << shift
s_mov_b32 s35, s36                                 // quotient
s_mul_i32 s36, s35, 0x60                           // quotient*divisor
s_sub_u32 s34, s[sgprSizeJ], s36                   // rReg = dividend - quotient*divisor
s_add_u32 s35, -0x1, s[sgprNumWorkGroups1]         // 
s_cmp_ge_u32 s[sgprWorkGroup1], s35                // wg1 >= nwg1-1
s_cselect_b32 s34, s34, 0                          // set rMT1
s_cmpk_gt_u32 s34, 0x0                             // rMT1 > 0
s_cbranch_scc1 GW_B1_E1_91                         // jump if edges required
GW_B1_E0_88:

/* edge=0, allocate 2 sgpr. perBatchTmpS=2 perBatchMaskS=0 perElementMaskS=0 elementsPerBatch=4 */
/* optSingleColVgpr=1 optSharedColVgpr=0 optSGPRUsage=BufferLoad_Mask optSrdIncForRow=1 */

/******************************************/
/* Global Write Alpha Beta Batch #0 (d1,d0,vc1,vc0) = */
/*    (0,0,0,0:vw4); (0,1,0,0:vw4); (0,2,0,0:vw4); (0,3,0,0:vw4) */
/******************************************/

/* calc coords, apply mask, and issue loads (if necessary) */
/* (d1,vc1,d0,vc0)=(0,0,0,0) */
_v_add_lshl_u32 v12, v2, v0, 0x2                   // optSingleColVgpr scaleToBpe: sharedAddrVgpr <- cinRowPtr + coord0, scaled by BPE. BSHERE:coord0=0, coord0Vgpr=0
_buffer_load_b128 v[16:19], v12, s[sgprSrdC:sgprSrdC+3], 0, offen offset:0 // load C for beta calc
/* (d1,vc1,d0,vc0)=(0,0,1,0) */
_buffer_load_b128 v[24:27], v12, s[sgprSrdC:sgprSrdC+3], 0, offen offset:32 // load C for beta calc
/* (d1,vc1,d0,vc0)=(0,0,2,0) */
_buffer_load_b128 v[32:35], v12, s[sgprSrdC:sgprSrdC+3], 0, offen offset:64 // load C for beta calc
/* (d1,vc1,d0,vc0)=(0,0,3,0) */
_buffer_load_b128 v[40:43], v12, s[sgprSrdC:sgprSrdC+3], 0, offen offset:96 // load C for beta calc
_v_add_lshl_u32 v9, v3, v0, 0x2                    // optSingleColVgpr scaleToBpe: sharedAddrVgpr <- cinRowPtr + coord0, scaled by BPE. BSHERE:coord0=0, coord0Vgpr=0
v_accvgpr_read_b32 v[vgprValuC+20], acc0 // copy acc to vreg[0]
v_accvgpr_read_b32 v[vgprValuC+21], acc1 // copy acc to vreg[1]
v_accvgpr_read_b32 v[vgprValuC+22], acc2 // copy acc to vreg[2]
v_accvgpr_read_b32 v[vgprValuC+23], acc3 // copy acc to vreg[3]
v_accvgpr_read_b32 v[vgprValuC+28], acc4 // copy acc to vreg[4]
v_accvgpr_read_b32 v[vgprValuC+29], acc5 // copy acc to vreg[5]
v_accvgpr_read_b32 v[vgprValuC+30], acc6 // copy acc to vreg[6]
v_accvgpr_read_b32 v[vgprValuC+31], acc7 // copy acc to vreg[7]
v_accvgpr_read_b32 v[vgprValuC+36], acc8 // copy acc to vreg[8]
v_accvgpr_read_b32 v[vgprValuC+37], acc9 // copy acc to vreg[9]
v_accvgpr_read_b32 v[vgprValuC+38], acc10 // copy acc to vreg[10]
v_accvgpr_read_b32 v[vgprValuC+39], acc11 // copy acc to vreg[11]
v_accvgpr_read_b32 v[vgprValuC+44], acc12 // copy acc to vreg[12]
v_accvgpr_read_b32 v[vgprValuC+45], acc13 // copy acc to vreg[13]
v_accvgpr_read_b32 v[vgprValuC+46], acc14 // copy acc to vreg[14]
v_accvgpr_read_b32 v[vgprValuC+47], acc15 // copy acc to vreg[15]
s_nop 1                                            // 2 wait states required before reading vgpr

/* rC *= alpha batchElements=[(0, 0, 0, 0), (0, 1, 0, 0), (0, 2, 0, 0), (0, 3, 0, 0)] */
v_mul_lo_u32 v[vgprValuC+20], s[sgprAlpha], v[vgprValuC+20] // *= alpha
v_mul_lo_u32 v[vgprValuC+21], s[sgprAlpha], v[vgprValuC+21] // *= alpha
	;; [unrolled: 1-line block ×16, first 2 shown]

/* apply mask, calc new C and issue writes */

s_waitcnt vmcnt(3)                                 // wait C (interleaved) 3 = 4 - 0 + 0 - 1
v_mul_lo_u32 v16, s[sgprBeta], v16                 // C = C*beta
_v_add_u32 v[vgprValuC+20], v16, v[vgprValuC+20]   // finalSum = sum*alpha + C*beta
v_mul_lo_u32 v17, s[sgprBeta], v17                 // C = C*beta
_v_add_u32 v[vgprValuC+21], v17, v[vgprValuC+21]   // finalSum = sum*alpha + C*beta
	;; [unrolled: 2-line block ×4, first 2 shown]
_ds_store_b128 v7, v[20:23], offset:0              // storeRemap lw

s_waitcnt vmcnt(2)                                 // wait C (interleaved) 2 = 4 - 1 + 0 - 1
v_mul_lo_u32 v24, s[sgprBeta], v24                 // C = C*beta
_v_add_u32 v[vgprValuC+28], v24, v[vgprValuC+28]   // finalSum = sum*alpha + C*beta
v_mul_lo_u32 v25, s[sgprBeta], v25                 // C = C*beta
_v_add_u32 v[vgprValuC+29], v25, v[vgprValuC+29]   // finalSum = sum*alpha + C*beta
v_mul_lo_u32 v26, s[sgprBeta], v26                 // C = C*beta
_v_add_u32 v[vgprValuC+30], v26, v[vgprValuC+30]   // finalSum = sum*alpha + C*beta
v_mul_lo_u32 v27, s[sgprBeta], v27                 // C = C*beta
_v_add_u32 v[vgprValuC+31], v27, v[vgprValuC+31]   // finalSum = sum*alpha + C*beta
_ds_store_b128 v7, v[28:31], offset:32             // storeRemap lw

s_waitcnt vmcnt(1)                                 // wait C (interleaved) 1 = 4 - 2 + 0 - 1
v_mul_lo_u32 v32, s[sgprBeta], v32                 // C = C*beta
_v_add_u32 v[vgprValuC+36], v32, v[vgprValuC+36]   // finalSum = sum*alpha + C*beta
v_mul_lo_u32 v33, s[sgprBeta], v33                 // C = C*beta
_v_add_u32 v[vgprValuC+37], v33, v[vgprValuC+37]   // finalSum = sum*alpha + C*beta
v_mul_lo_u32 v34, s[sgprBeta], v34                 // C = C*beta
_v_add_u32 v[vgprValuC+38], v34, v[vgprValuC+38]   // finalSum = sum*alpha + C*beta
v_mul_lo_u32 v35, s[sgprBeta], v35                 // C = C*beta
_v_add_u32 v[vgprValuC+39], v35, v[vgprValuC+39]   // finalSum = sum*alpha + C*beta
_ds_store_b128 v7, v[36:39], offset:64             // storeRemap lw
	;; [unrolled: 11-line block ×3, first 2 shown]

/* Handle local read and global write */
s_waitcnt lgkmcnt(0)                               // wait for LDS write
s_barrier //wait all lds write finished

_ds_load_b128 v[16:19], v8, offset:0               // storeRemap lr
_ds_load_b128 v[20:23], v8, offset:1056            // storeRemap lr
_ds_load_b128 v[24:27], v8, offset:2112            // storeRemap lr
	;; [unrolled: 1-line block ×3, first 2 shown]

v_mov_b32 v13, v6                                  // coord1
v_mul_lo_u32 v13, v13, s[sgprStrideD1J]            // coord1 offset =  coord1 * StrideD
_v_add_lshl_u32 v13, v13, v4, 0x2                  // global write D address
s_waitcnt lgkmcnt(3)                               // wait for LDS read
_buffer_store_b128 v[16:19], v13, s[sgprSrdD:sgprSrdD+3], 0, offen, offset:0 // store D
_v_add_u32 v13, v6, 2                              // coord1 += nColPerLoad
v_mul_lo_u32 v13, v13, s[sgprStrideD1J]            // coord1 offset =  coord1 * StrideD
_v_add_lshl_u32 v13, v13, v4, 0x2                  // global write D address
s_waitcnt lgkmcnt(2)                               // wait for LDS read
_buffer_store_b128 v[20:23], v13, s[sgprSrdD:sgprSrdD+3], 0, offen, offset:0 // store D
_v_add_u32 v13, v6, 4                              // coord1 += nColPerLoad
v_mul_lo_u32 v13, v13, s[sgprStrideD1J]            // coord1 offset =  coord1 * StrideD
_v_add_lshl_u32 v13, v13, v4, 0x2                  // global write D address
s_waitcnt lgkmcnt(1)                               // wait for LDS read
_buffer_store_b128 v[24:27], v13, s[sgprSrdD:sgprSrdD+3], 0, offen, offset:0 // store D
_v_add_u32 v13, v6, 6                              // coord1 += nColPerLoad
v_mul_lo_u32 v13, v13, s[sgprStrideD1J]            // coord1 offset =  coord1 * StrideD
_v_add_lshl_u32 v13, v13, v4, 0x2                  // global write D address
s_waitcnt lgkmcnt(0)                               // wait for LDS read
_buffer_store_b128 v[28:31], v13, s[sgprSrdD:sgprSrdD+3], 0, offen, offset:0 // store D

s_barrier //wait all lds read finished
s_nop 0                                            // 1 wait state required when next inst writes vgprs held by previous dwordx4 store inst
/* optSingleColVgpr=1 optSharedColVgpr=0 optSGPRUsage=BufferLoad_Mask optSrdIncForRow=1 */

/******************************************/
/* Global Write Alpha Beta Batch #1 (d1,d0,vc1,vc0) = */
/*    (1,0,0,0:vw4); (1,1,0,0:vw4); (1,2,0,0:vw4); (1,3,0,0:vw4) */
/******************************************/

/* calc coords, apply mask, and issue loads (if necessary) */
/* (d1,vc1,d0,vc0)=(1,0,0,0) */
s_mul_i32 s34, s[sgprStrideC1J], 128               // scale StrideC *= numRows(32) * bpe
s_add_u32  s[sgprSrdC+0], s[sgprSrdC+0], s34       // incToNextRow: gra SRD += inc(lower)
s_addc_u32  s[sgprSrdC+1], s[sgprSrdC+1], 0        // incToNextRow: gra SRD += inc(upper)
_buffer_load_b128 v[16:19], v12, s[sgprSrdC:sgprSrdC+3], 0, offen offset:0 // load C for beta calc
/* (d1,vc1,d0,vc0)=(1,0,1,0) */
_buffer_load_b128 v[24:27], v12, s[sgprSrdC:sgprSrdC+3], 0, offen offset:32 // load C for beta calc
/* (d1,vc1,d0,vc0)=(1,0,2,0) */
_buffer_load_b128 v[32:35], v12, s[sgprSrdC:sgprSrdC+3], 0, offen offset:64 // load C for beta calc
/* (d1,vc1,d0,vc0)=(1,0,3,0) */
_buffer_load_b128 v[40:43], v12, s[sgprSrdC:sgprSrdC+3], 0, offen offset:96 // load C for beta calc
v_accvgpr_read_b32 v[vgprValuC+20], acc16 // copy acc to vreg[16]
v_accvgpr_read_b32 v[vgprValuC+21], acc17 // copy acc to vreg[17]
v_accvgpr_read_b32 v[vgprValuC+22], acc18 // copy acc to vreg[18]
v_accvgpr_read_b32 v[vgprValuC+23], acc19 // copy acc to vreg[19]
v_accvgpr_read_b32 v[vgprValuC+28], acc20 // copy acc to vreg[20]
v_accvgpr_read_b32 v[vgprValuC+29], acc21 // copy acc to vreg[21]
v_accvgpr_read_b32 v[vgprValuC+30], acc22 // copy acc to vreg[22]
v_accvgpr_read_b32 v[vgprValuC+31], acc23 // copy acc to vreg[23]
v_accvgpr_read_b32 v[vgprValuC+36], acc24 // copy acc to vreg[24]
v_accvgpr_read_b32 v[vgprValuC+37], acc25 // copy acc to vreg[25]
v_accvgpr_read_b32 v[vgprValuC+38], acc26 // copy acc to vreg[26]
v_accvgpr_read_b32 v[vgprValuC+39], acc27 // copy acc to vreg[27]
v_accvgpr_read_b32 v[vgprValuC+44], acc28 // copy acc to vreg[28]
v_accvgpr_read_b32 v[vgprValuC+45], acc29 // copy acc to vreg[29]
v_accvgpr_read_b32 v[vgprValuC+46], acc30 // copy acc to vreg[30]
v_accvgpr_read_b32 v[vgprValuC+47], acc31 // copy acc to vreg[31]
s_nop 1                                            // 2 wait states required before reading vgpr

/* rC *= alpha batchElements=[(1, 0, 0, 0), (1, 1, 0, 0), (1, 2, 0, 0), (1, 3, 0, 0)] */
v_mul_lo_u32 v[vgprValuC+20], s[sgprAlpha], v[vgprValuC+20] // *= alpha
v_mul_lo_u32 v[vgprValuC+21], s[sgprAlpha], v[vgprValuC+21] // *= alpha
	;; [unrolled: 1-line block ×16, first 2 shown]

/* apply mask, calc new C and issue writes */

/* StoreRemap: shift coord1 address */
s_mul_i32 s34, s[sgprStrideD1J], 128               // scale StrideD *= numRows(32) * bpe
s_add_u32  s[sgprSrdD+0], s[sgprSrdD+0], s34       // incToNextRow: gra SRD += inc(lower)
s_addc_u32  s[sgprSrdD+1], s[sgprSrdD+1], 0        // incToNextRow: gra SRD += inc(upper)
v_mov_b32 v10, 32                                  // set shift rows
_v_add_u32 v5, v5, v10                             // shift storeRemap coord1

s_waitcnt vmcnt(3)                                 // wait C (interleaved) 3 = 4 - 0 + 0 - 1
v_mul_lo_u32 v16, s[sgprBeta], v16                 // C = C*beta
_v_add_u32 v[vgprValuC+20], v16, v[vgprValuC+20]   // finalSum = sum*alpha + C*beta
v_mul_lo_u32 v17, s[sgprBeta], v17                 // C = C*beta
_v_add_u32 v[vgprValuC+21], v17, v[vgprValuC+21]   // finalSum = sum*alpha + C*beta
	;; [unrolled: 2-line block ×4, first 2 shown]
_ds_store_b128 v7, v[20:23], offset:0              // storeRemap lw

s_waitcnt vmcnt(2)                                 // wait C (interleaved) 2 = 4 - 1 + 0 - 1
v_mul_lo_u32 v24, s[sgprBeta], v24                 // C = C*beta
_v_add_u32 v[vgprValuC+28], v24, v[vgprValuC+28]   // finalSum = sum*alpha + C*beta
v_mul_lo_u32 v25, s[sgprBeta], v25                 // C = C*beta
_v_add_u32 v[vgprValuC+29], v25, v[vgprValuC+29]   // finalSum = sum*alpha + C*beta
v_mul_lo_u32 v26, s[sgprBeta], v26                 // C = C*beta
_v_add_u32 v[vgprValuC+30], v26, v[vgprValuC+30]   // finalSum = sum*alpha + C*beta
v_mul_lo_u32 v27, s[sgprBeta], v27                 // C = C*beta
_v_add_u32 v[vgprValuC+31], v27, v[vgprValuC+31]   // finalSum = sum*alpha + C*beta
_ds_store_b128 v7, v[28:31], offset:32             // storeRemap lw

s_waitcnt vmcnt(1)                                 // wait C (interleaved) 1 = 4 - 2 + 0 - 1
v_mul_lo_u32 v32, s[sgprBeta], v32                 // C = C*beta
_v_add_u32 v[vgprValuC+36], v32, v[vgprValuC+36]   // finalSum = sum*alpha + C*beta
v_mul_lo_u32 v33, s[sgprBeta], v33                 // C = C*beta
_v_add_u32 v[vgprValuC+37], v33, v[vgprValuC+37]   // finalSum = sum*alpha + C*beta
v_mul_lo_u32 v34, s[sgprBeta], v34                 // C = C*beta
_v_add_u32 v[vgprValuC+38], v34, v[vgprValuC+38]   // finalSum = sum*alpha + C*beta
v_mul_lo_u32 v35, s[sgprBeta], v35                 // C = C*beta
_v_add_u32 v[vgprValuC+39], v35, v[vgprValuC+39]   // finalSum = sum*alpha + C*beta
_ds_store_b128 v7, v[36:39], offset:64             // storeRemap lw
	;; [unrolled: 11-line block ×3, first 2 shown]

/* Handle local read and global write */
s_waitcnt lgkmcnt(0)                               // wait for LDS write
s_barrier //wait all lds write finished

_ds_load_b128 v[16:19], v8, offset:0               // storeRemap lr
_ds_load_b128 v[20:23], v8, offset:1056            // storeRemap lr
_ds_load_b128 v[24:27], v8, offset:2112            // storeRemap lr
	;; [unrolled: 1-line block ×3, first 2 shown]

v_mov_b32 v13, v6                                  // coord1
v_mul_lo_u32 v13, v13, s[sgprStrideD1J]            // coord1 offset =  coord1 * StrideD
_v_add_lshl_u32 v13, v13, v4, 0x2                  // global write D address
s_waitcnt lgkmcnt(3)                               // wait for LDS read
_buffer_store_b128 v[16:19], v13, s[sgprSrdD:sgprSrdD+3], 0, offen, offset:0 // store D
_v_add_u32 v13, v6, 2                              // coord1 += nColPerLoad
v_mul_lo_u32 v13, v13, s[sgprStrideD1J]            // coord1 offset =  coord1 * StrideD
_v_add_lshl_u32 v13, v13, v4, 0x2                  // global write D address
s_waitcnt lgkmcnt(2)                               // wait for LDS read
_buffer_store_b128 v[20:23], v13, s[sgprSrdD:sgprSrdD+3], 0, offen, offset:0 // store D
_v_add_u32 v13, v6, 4                              // coord1 += nColPerLoad
	;; [unrolled: 5-line block ×3, first 2 shown]
v_mul_lo_u32 v13, v13, s[sgprStrideD1J]            // coord1 offset =  coord1 * StrideD
_v_add_lshl_u32 v13, v13, v4, 0x2                  // global write D address
s_waitcnt lgkmcnt(0)                               // wait for LDS read
_buffer_store_b128 v[28:31], v13, s[sgprSrdD:sgprSrdD+3], 0, offen, offset:0 // store D

s_barrier //wait all lds read finished
s_nop 0                                            // 1 wait state required when next inst writes vgprs held by previous dwordx4 store inst
/* optSingleColVgpr=1 optSharedColVgpr=0 optSGPRUsage=BufferLoad_Mask optSrdIncForRow=1 */

/******************************************/
/* Global Write Alpha Beta Batch #2 (d1,d0,vc1,vc0) = */
/*    (2,0,0,0:vw4); (2,1,0,0:vw4); (2,2,0,0:vw4); (2,3,0,0:vw4) */
/******************************************/

/* calc coords, apply mask, and issue loads (if necessary) */
/* (d1,vc1,d0,vc0)=(2,0,0,0) */
s_mul_i32 s34, s[sgprStrideC1J], 128               // scale StrideC *= numRows(32) * bpe
s_add_u32  s[sgprSrdC+0], s[sgprSrdC+0], s34       // incToNextRow: gra SRD += inc(lower)
s_addc_u32  s[sgprSrdC+1], s[sgprSrdC+1], 0        // incToNextRow: gra SRD += inc(upper)
_buffer_load_b128 v[16:19], v12, s[sgprSrdC:sgprSrdC+3], 0, offen offset:0 // load C for beta calc
/* (d1,vc1,d0,vc0)=(2,0,1,0) */
_buffer_load_b128 v[24:27], v12, s[sgprSrdC:sgprSrdC+3], 0, offen offset:32 // load C for beta calc
/* (d1,vc1,d0,vc0)=(2,0,2,0) */
	;; [unrolled: 2-line block ×3, first 2 shown]
_buffer_load_b128 v[40:43], v12, s[sgprSrdC:sgprSrdC+3], 0, offen offset:96 // load C for beta calc
v_accvgpr_read_b32 v[vgprValuC+20], acc32 // copy acc to vreg[32]
v_accvgpr_read_b32 v[vgprValuC+21], acc33 // copy acc to vreg[33]
v_accvgpr_read_b32 v[vgprValuC+22], acc34 // copy acc to vreg[34]
v_accvgpr_read_b32 v[vgprValuC+23], acc35 // copy acc to vreg[35]
v_accvgpr_read_b32 v[vgprValuC+28], acc36 // copy acc to vreg[36]
v_accvgpr_read_b32 v[vgprValuC+29], acc37 // copy acc to vreg[37]
v_accvgpr_read_b32 v[vgprValuC+30], acc38 // copy acc to vreg[38]
v_accvgpr_read_b32 v[vgprValuC+31], acc39 // copy acc to vreg[39]
v_accvgpr_read_b32 v[vgprValuC+36], acc40 // copy acc to vreg[40]
v_accvgpr_read_b32 v[vgprValuC+37], acc41 // copy acc to vreg[41]
v_accvgpr_read_b32 v[vgprValuC+38], acc42 // copy acc to vreg[42]
v_accvgpr_read_b32 v[vgprValuC+39], acc43 // copy acc to vreg[43]
v_accvgpr_read_b32 v[vgprValuC+44], acc44 // copy acc to vreg[44]
v_accvgpr_read_b32 v[vgprValuC+45], acc45 // copy acc to vreg[45]
v_accvgpr_read_b32 v[vgprValuC+46], acc46 // copy acc to vreg[46]
v_accvgpr_read_b32 v[vgprValuC+47], acc47 // copy acc to vreg[47]
s_nop 1                                            // 2 wait states required before reading vgpr

/* rC *= alpha batchElements=[(2, 0, 0, 0), (2, 1, 0, 0), (2, 2, 0, 0), (2, 3, 0, 0)] */
v_mul_lo_u32 v[vgprValuC+20], s[sgprAlpha], v[vgprValuC+20] // *= alpha
v_mul_lo_u32 v[vgprValuC+21], s[sgprAlpha], v[vgprValuC+21] // *= alpha
	;; [unrolled: 1-line block ×16, first 2 shown]

/* apply mask, calc new C and issue writes */

/* StoreRemap: shift coord1 address */
s_mul_i32 s34, s[sgprStrideD1J], 128               // scale StrideD *= numRows(32) * bpe
s_add_u32  s[sgprSrdD+0], s[sgprSrdD+0], s34       // incToNextRow: gra SRD += inc(lower)
s_addc_u32  s[sgprSrdD+1], s[sgprSrdD+1], 0        // incToNextRow: gra SRD += inc(upper)
v_mov_b32 v10, 32                                  // set shift rows
_v_add_u32 v5, v5, v10                             // shift storeRemap coord1

s_waitcnt vmcnt(3)                                 // wait C (interleaved) 3 = 4 - 0 + 0 - 1
v_mul_lo_u32 v16, s[sgprBeta], v16                 // C = C*beta
_v_add_u32 v[vgprValuC+20], v16, v[vgprValuC+20]   // finalSum = sum*alpha + C*beta
v_mul_lo_u32 v17, s[sgprBeta], v17                 // C = C*beta
_v_add_u32 v[vgprValuC+21], v17, v[vgprValuC+21]   // finalSum = sum*alpha + C*beta
	;; [unrolled: 2-line block ×4, first 2 shown]
_ds_store_b128 v7, v[20:23], offset:0              // storeRemap lw

s_waitcnt vmcnt(2)                                 // wait C (interleaved) 2 = 4 - 1 + 0 - 1
v_mul_lo_u32 v24, s[sgprBeta], v24                 // C = C*beta
_v_add_u32 v[vgprValuC+28], v24, v[vgprValuC+28]   // finalSum = sum*alpha + C*beta
v_mul_lo_u32 v25, s[sgprBeta], v25                 // C = C*beta
_v_add_u32 v[vgprValuC+29], v25, v[vgprValuC+29]   // finalSum = sum*alpha + C*beta
v_mul_lo_u32 v26, s[sgprBeta], v26                 // C = C*beta
_v_add_u32 v[vgprValuC+30], v26, v[vgprValuC+30]   // finalSum = sum*alpha + C*beta
v_mul_lo_u32 v27, s[sgprBeta], v27                 // C = C*beta
_v_add_u32 v[vgprValuC+31], v27, v[vgprValuC+31]   // finalSum = sum*alpha + C*beta
_ds_store_b128 v7, v[28:31], offset:32             // storeRemap lw

s_waitcnt vmcnt(1)                                 // wait C (interleaved) 1 = 4 - 2 + 0 - 1
v_mul_lo_u32 v32, s[sgprBeta], v32                 // C = C*beta
_v_add_u32 v[vgprValuC+36], v32, v[vgprValuC+36]   // finalSum = sum*alpha + C*beta
v_mul_lo_u32 v33, s[sgprBeta], v33                 // C = C*beta
_v_add_u32 v[vgprValuC+37], v33, v[vgprValuC+37]   // finalSum = sum*alpha + C*beta
v_mul_lo_u32 v34, s[sgprBeta], v34                 // C = C*beta
_v_add_u32 v[vgprValuC+38], v34, v[vgprValuC+38]   // finalSum = sum*alpha + C*beta
v_mul_lo_u32 v35, s[sgprBeta], v35                 // C = C*beta
_v_add_u32 v[vgprValuC+39], v35, v[vgprValuC+39]   // finalSum = sum*alpha + C*beta
_ds_store_b128 v7, v[36:39], offset:64             // storeRemap lw
	;; [unrolled: 11-line block ×3, first 2 shown]

/* Handle local read and global write */
s_waitcnt lgkmcnt(0)                               // wait for LDS write
s_barrier //wait all lds write finished

_ds_load_b128 v[16:19], v8, offset:0               // storeRemap lr
_ds_load_b128 v[20:23], v8, offset:1056            // storeRemap lr
_ds_load_b128 v[24:27], v8, offset:2112            // storeRemap lr
_ds_load_b128 v[28:31], v8, offset:3168            // storeRemap lr

v_mov_b32 v13, v6                                  // coord1
v_mul_lo_u32 v13, v13, s[sgprStrideD1J]            // coord1 offset =  coord1 * StrideD
_v_add_lshl_u32 v13, v13, v4, 0x2                  // global write D address
s_waitcnt lgkmcnt(3)                               // wait for LDS read
_buffer_store_b128 v[16:19], v13, s[sgprSrdD:sgprSrdD+3], 0, offen, offset:0 // store D
_v_add_u32 v13, v6, 2                              // coord1 += nColPerLoad
v_mul_lo_u32 v13, v13, s[sgprStrideD1J]            // coord1 offset =  coord1 * StrideD
_v_add_lshl_u32 v13, v13, v4, 0x2                  // global write D address
s_waitcnt lgkmcnt(2)                               // wait for LDS read
_buffer_store_b128 v[20:23], v13, s[sgprSrdD:sgprSrdD+3], 0, offen, offset:0 // store D
_v_add_u32 v13, v6, 4                              // coord1 += nColPerLoad
	;; [unrolled: 5-line block ×3, first 2 shown]
v_mul_lo_u32 v13, v13, s[sgprStrideD1J]            // coord1 offset =  coord1 * StrideD
_v_add_lshl_u32 v13, v13, v4, 0x2                  // global write D address
s_waitcnt lgkmcnt(0)                               // wait for LDS read
_buffer_store_b128 v[28:31], v13, s[sgprSrdD:sgprSrdD+3], 0, offen, offset:0 // store D

s_barrier //wait all lds read finished
s_nop 0                                            // 1 wait state required when next inst writes vgprs held by previous dwordx4 store inst
s_branch label_GW_End_92                           // jump to end
GW_B1_E1_91:

/* edge=1, allocate 6 sgpr. perBatchTmpS=4 perBatchMaskS=2 perElementMaskS=0 elementsPerBatch=4 */
/* optSingleColVgpr=0 optSharedColVgpr=0 optSGPRUsage=BufferLoad_Edge_Mask optSrdIncForRow=1 */

/******************************************/
/* Global Write Alpha Beta Edge Batch #0 (d1,d0,vc1,vc0) = */
/*    (0,0,0,0:vw4); (0,1,0,0:vw4); (0,2,0,0:vw4); (0,3,0,0:vw4) */
/******************************************/

/* calc coords, apply mask, and issue loads (if necessary) */
/* (d1,vc1,d0,vc0)=(0,0,0,0) */
v_cmp_lt_u32 s[34:35], v0, s[sgprSizeI]            // coord0 < size0
v_cmp_lt_u32 s[38:39], v1, s[sgprSizeJ]            // coord1 < size1
s_and_b64 s[38:39], s[34:35], s[38:39]             // in0 && in1
_v_add_lshl_u32 v9, v2, v0, 0x2                    // scaleToBpe: accumulate d0 lower and *= bpe into Cin addr
v_cndmask_b32 v9, -1, v9, s[38:39]                 // LDC clip if OOB. offset
_buffer_load_b128 v[12:15], v9, s[sgprSrdC:sgprSrdC+3], 0, offen offset:0 // load C for beta calc
_v_add_lshl_u32 v9, v3, v0, 0x2                    // scaleToBpe: accumulate d0 lower and *= bpe into Cin addr
v_cndmask_b32 v9, -1, v9, s[38:39]                 // LDD clip if OOB. offset
/* (d1,vc1,d0,vc0)=(0,0,1,0) */
_v_add_co_u32 v10, vcc, v0, 8                      // coord0.1: coord0 += d0*sg0*VW + vc0
v_cmp_lt_u32 s[34:35], v10, s[sgprSizeI]           // coord0 < size0
v_cmp_lt_u32 s[38:39], v1, s[sgprSizeJ]            // coord1 < size1
s_and_b64 s[38:39], s[34:35], s[38:39]             // in0 && in1
_v_add_lshl_u32 v20, v2, v10, 0x2                  // scaleToBpe: accumulate d0 lower and *= bpe into Cin addr
v_cndmask_b32 v20, -1, v20, s[38:39]               // LDC clip if OOB. offset
_buffer_load_b128 v[24:27], v20, s[sgprSrdC:sgprSrdC+3], 0, offen offset:0 // load C for beta calc
_v_add_lshl_u32 v20, v3, v10, 0x2                  // scaleToBpe: accumulate d0 lower and *= bpe into Cin addr
v_cndmask_b32 v20, -1, v20, s[38:39]               // LDD clip if OOB. offset
/* (d1,vc1,d0,vc0)=(0,0,2,0) */
_v_add_co_u32 v10, vcc, v0, 16                     // coord0.1: coord0 += d0*sg0*VW + vc0
v_cmp_lt_u32 s[34:35], v10, s[sgprSizeI]           // coord0 < size0
v_cmp_lt_u32 s[38:39], v1, s[sgprSizeJ]            // coord1 < size1
s_and_b64 s[38:39], s[34:35], s[38:39]             // in0 && in1
_v_add_lshl_u32 v21, v2, v10, 0x2                  // scaleToBpe: accumulate d0 lower and *= bpe into Cin addr
v_cndmask_b32 v21, -1, v21, s[38:39]               // LDC clip if OOB. offset
_buffer_load_b128 v[32:35], v21, s[sgprSrdC:sgprSrdC+3], 0, offen offset:0 // load C for beta calc
_v_add_lshl_u32 v21, v3, v10, 0x2                  // scaleToBpe: accumulate d0 lower and *= bpe into Cin addr
v_cndmask_b32 v21, -1, v21, s[38:39]               // LDD clip if OOB. offset
/* (d1,vc1,d0,vc0)=(0,0,3,0) */
_v_add_co_u32 v10, vcc, v0, 24                     // coord0.1: coord0 += d0*sg0*VW + vc0
v_cmp_lt_u32 s[34:35], v10, s[sgprSizeI]           // coord0 < size0
v_cmp_lt_u32 s[38:39], v1, s[sgprSizeJ]            // coord1 < size1
s_and_b64 s[38:39], s[34:35], s[38:39]             // in0 && in1
_v_add_lshl_u32 v22, v2, v10, 0x2                  // scaleToBpe: accumulate d0 lower and *= bpe into Cin addr
v_cndmask_b32 v22, -1, v22, s[38:39]               // LDC clip if OOB. offset
_buffer_load_b128 v[40:43], v22, s[sgprSrdC:sgprSrdC+3], 0, offen offset:0 // load C for beta calc
_v_add_lshl_u32 v22, v3, v10, 0x2                  // scaleToBpe: accumulate d0 lower and *= bpe into Cin addr
v_cndmask_b32 v22, -1, v22, s[38:39]               // LDD clip if OOB. offset
v_accvgpr_read_b32 v[vgprValuC+16], acc0 // copy acc to vreg[0]
v_accvgpr_read_b32 v[vgprValuC+17], acc1 // copy acc to vreg[1]
v_accvgpr_read_b32 v[vgprValuC+18], acc2 // copy acc to vreg[2]
v_accvgpr_read_b32 v[vgprValuC+19], acc3 // copy acc to vreg[3]
v_accvgpr_read_b32 v[vgprValuC+28], acc4 // copy acc to vreg[4]
v_accvgpr_read_b32 v[vgprValuC+29], acc5 // copy acc to vreg[5]
v_accvgpr_read_b32 v[vgprValuC+30], acc6 // copy acc to vreg[6]
v_accvgpr_read_b32 v[vgprValuC+31], acc7 // copy acc to vreg[7]
v_accvgpr_read_b32 v[vgprValuC+36], acc8 // copy acc to vreg[8]
v_accvgpr_read_b32 v[vgprValuC+37], acc9 // copy acc to vreg[9]
v_accvgpr_read_b32 v[vgprValuC+38], acc10 // copy acc to vreg[10]
v_accvgpr_read_b32 v[vgprValuC+39], acc11 // copy acc to vreg[11]
v_accvgpr_read_b32 v[vgprValuC+44], acc12 // copy acc to vreg[12]
v_accvgpr_read_b32 v[vgprValuC+45], acc13 // copy acc to vreg[13]
v_accvgpr_read_b32 v[vgprValuC+46], acc14 // copy acc to vreg[14]
v_accvgpr_read_b32 v[vgprValuC+47], acc15 // copy acc to vreg[15]
s_nop 1                                            // 2 wait states required before reading vgpr

/* rC *= alpha batchElements=[(0, 0, 0, 0), (0, 1, 0, 0), (0, 2, 0, 0), (0, 3, 0, 0)] */
v_mul_lo_u32 v[vgprValuC+16], s[sgprAlpha], v[vgprValuC+16] // *= alpha
v_mul_lo_u32 v[vgprValuC+17], s[sgprAlpha], v[vgprValuC+17] // *= alpha
	;; [unrolled: 1-line block ×16, first 2 shown]
s_waitcnt vmcnt(0)                                 // wait C

/* apply mask, calc new C and issue writes */
v_mul_lo_u32 v12, s[sgprBeta], v12                 // C = C*beta
_v_add_u32 v[vgprValuC+16], v12, v[vgprValuC+16]   // finalSum = sum*alpha + C*beta
v_mul_lo_u32 v13, s[sgprBeta], v13                 // C = C*beta
_v_add_u32 v[vgprValuC+17], v13, v[vgprValuC+17]   // finalSum = sum*alpha + C*beta
	;; [unrolled: 2-line block ×4, first 2 shown]
_ds_store_b128 v7, v[16:19], offset:0              // storeRemap lw
v_mul_lo_u32 v24, s[sgprBeta], v24                 // C = C*beta
_v_add_u32 v[vgprValuC+28], v24, v[vgprValuC+28]   // finalSum = sum*alpha + C*beta
v_mul_lo_u32 v25, s[sgprBeta], v25                 // C = C*beta
_v_add_u32 v[vgprValuC+29], v25, v[vgprValuC+29]   // finalSum = sum*alpha + C*beta
v_mul_lo_u32 v26, s[sgprBeta], v26                 // C = C*beta
_v_add_u32 v[vgprValuC+30], v26, v[vgprValuC+30]   // finalSum = sum*alpha + C*beta
v_mul_lo_u32 v27, s[sgprBeta], v27                 // C = C*beta
_v_add_u32 v[vgprValuC+31], v27, v[vgprValuC+31]   // finalSum = sum*alpha + C*beta
_ds_store_b128 v7, v[28:31], offset:32             // storeRemap lw
v_mul_lo_u32 v32, s[sgprBeta], v32                 // C = C*beta
_v_add_u32 v[vgprValuC+36], v32, v[vgprValuC+36]   // finalSum = sum*alpha + C*beta
v_mul_lo_u32 v33, s[sgprBeta], v33                 // C = C*beta
_v_add_u32 v[vgprValuC+37], v33, v[vgprValuC+37]   // finalSum = sum*alpha + C*beta
v_mul_lo_u32 v34, s[sgprBeta], v34                 // C = C*beta
_v_add_u32 v[vgprValuC+38], v34, v[vgprValuC+38]   // finalSum = sum*alpha + C*beta
v_mul_lo_u32 v35, s[sgprBeta], v35                 // C = C*beta
_v_add_u32 v[vgprValuC+39], v35, v[vgprValuC+39]   // finalSum = sum*alpha + C*beta
_ds_store_b128 v7, v[36:39], offset:64             // storeRemap lw
v_mul_lo_u32 v40, s[sgprBeta], v40                 // C = C*beta
_v_add_u32 v[vgprValuC+44], v40, v[vgprValuC+44]   // finalSum = sum*alpha + C*beta
v_mul_lo_u32 v41, s[sgprBeta], v41                 // C = C*beta
_v_add_u32 v[vgprValuC+45], v41, v[vgprValuC+45]   // finalSum = sum*alpha + C*beta
v_mul_lo_u32 v42, s[sgprBeta], v42                 // C = C*beta
_v_add_u32 v[vgprValuC+46], v42, v[vgprValuC+46]   // finalSum = sum*alpha + C*beta
v_mul_lo_u32 v43, s[sgprBeta], v43                 // C = C*beta
_v_add_u32 v[vgprValuC+47], v43, v[vgprValuC+47]   // finalSum = sum*alpha + C*beta
_ds_store_b128 v7, v[44:47], offset:96             // storeRemap lw

/* Handle local read and global write */
s_waitcnt lgkmcnt(0)                               // wait for LDS write
s_barrier //wait all lds write finished

_ds_load_b128 v[12:15], v8, offset:0               // storeRemap lr
_ds_load_b128 v[16:19], v8, offset:1056            // storeRemap lr
_ds_load_b128 v[20:23], v8, offset:2112            // storeRemap lr
	;; [unrolled: 1-line block ×3, first 2 shown]

s_waitcnt lgkmcnt(3)                               // wait for LDS read
_v_add_u32 v11, v5, 0                              // coord1 += nColPerLoad
_v_add_u32 v10, v4, 0                              // coord0 += element index of load vector
_v_add_u32 v9, v6, 0                               // offset coord1 += nColPerLoad
v_cmp_lt_u32 s[34:35], v10, s[sgprSizeI]           // coord0 < size0
v_cmp_lt_u32 s[36:37], v11, s[sgprSizeJ]           // coord1 < size1
s_and_b64 s[36:37], s[34:35], s[36:37]             // in0 && in1
v_mul_lo_u32 v9, v9, s[sgprStrideD1J]              // coord1 element offset =  coord1 * StrideD
_v_add_lshl_u32 v9, v9, v10, 0x2                   // scale to BPE
v_cndmask_b32 v9, -1, v9, s[36:37]                 // clip if OOB. offset
_buffer_store_b128 v[12:15], v9, s[sgprSrdD:sgprSrdD+3], 0, offen, offset:0 // store D
s_waitcnt lgkmcnt(2)                               // wait for LDS read
_v_add_u32 v11, v5, 2                              // coord1 += nColPerLoad
_v_add_u32 v10, v4, 0                              // coord0 += element index of load vector
_v_add_u32 v9, v6, 2                               // offset coord1 += nColPerLoad
v_cmp_lt_u32 s[34:35], v10, s[sgprSizeI]           // coord0 < size0
v_cmp_lt_u32 s[36:37], v11, s[sgprSizeJ]           // coord1 < size1
s_and_b64 s[36:37], s[34:35], s[36:37]             // in0 && in1
v_mul_lo_u32 v9, v9, s[sgprStrideD1J]              // coord1 element offset =  coord1 * StrideD
_v_add_lshl_u32 v9, v9, v10, 0x2                   // scale to BPE
v_cndmask_b32 v9, -1, v9, s[36:37]                 // clip if OOB. offset
_buffer_store_b128 v[16:19], v9, s[sgprSrdD:sgprSrdD+3], 0, offen, offset:0 // store D
s_waitcnt lgkmcnt(1)                               // wait for LDS read
_v_add_u32 v11, v5, 4                              // coord1 += nColPerLoad
_v_add_u32 v10, v4, 0                              // coord0 += element index of load vector
_v_add_u32 v9, v6, 4                               // offset coord1 += nColPerLoad
v_cmp_lt_u32 s[34:35], v10, s[sgprSizeI]           // coord0 < size0
v_cmp_lt_u32 s[36:37], v11, s[sgprSizeJ]           // coord1 < size1
s_and_b64 s[36:37], s[34:35], s[36:37]             // in0 && in1
v_mul_lo_u32 v9, v9, s[sgprStrideD1J]              // coord1 element offset =  coord1 * StrideD
_v_add_lshl_u32 v9, v9, v10, 0x2                   // scale to BPE
v_cndmask_b32 v9, -1, v9, s[36:37]                 // clip if OOB. offset
_buffer_store_b128 v[20:23], v9, s[sgprSrdD:sgprSrdD+3], 0, offen, offset:0 // store D
s_waitcnt lgkmcnt(0)                               // wait for LDS read
_v_add_u32 v11, v5, 6                              // coord1 += nColPerLoad
_v_add_u32 v10, v4, 0                              // coord0 += element index of load vector
_v_add_u32 v9, v6, 6                               // offset coord1 += nColPerLoad
v_cmp_lt_u32 s[34:35], v10, s[sgprSizeI]           // coord0 < size0
v_cmp_lt_u32 s[36:37], v11, s[sgprSizeJ]           // coord1 < size1
s_and_b64 s[36:37], s[34:35], s[36:37]             // in0 && in1
v_mul_lo_u32 v9, v9, s[sgprStrideD1J]              // coord1 element offset =  coord1 * StrideD
_v_add_lshl_u32 v9, v9, v10, 0x2                   // scale to BPE
v_cndmask_b32 v9, -1, v9, s[36:37]                 // clip if OOB. offset
_buffer_store_b128 v[24:27], v9, s[sgprSrdD:sgprSrdD+3], 0, offen, offset:0 // store D

s_barrier //wait all lds read finished
s_nop 0                                            // 1 wait state required when next inst writes vgprs held by previous dwordx4 store inst
/* optSingleColVgpr=0 optSharedColVgpr=0 optSGPRUsage=BufferLoad_Edge_Mask optSrdIncForRow=1 */

/******************************************/
/* Global Write Alpha Beta Edge Batch #1 (d1,d0,vc1,vc0) = */
/*    (1,0,0,0:vw4); (1,1,0,0:vw4); (1,2,0,0:vw4); (1,3,0,0:vw4) */
/******************************************/

/* calc coords, apply mask, and issue loads (if necessary) */
/* (d1,vc1,d0,vc0)=(1,0,0,0) */
_v_add_co_u32 v1, vcc, v1, 32                      // coord1.1: coord1Vgpr += d1*sg1*VW + vc1
v_cmp_lt_u32 s[34:35], v0, s[sgprSizeI]            // coord0 < size0
v_cmp_lt_u32 s[38:39], v1, s[sgprSizeJ]            // coord1 < size1
s_and_b64 s[38:39], s[34:35], s[38:39]             // in0 && in1
_v_add_lshl_u32 v9, v2, v0, 0x2                    // scaleToBpe: accumulate d0 lower and *= bpe into Cin addr
v_cndmask_b32 v9, -1, v9, s[38:39]                 // LDC clip if OOB. offset
s_mul_i32 s34, s[sgprStrideC1J], 128               // scale StrideC *= numRows(32) * bpe
s_add_u32  s[sgprSrdC+0], s[sgprSrdC+0], s34       // incToNextRow: gra SRD += inc(lower)
s_addc_u32  s[sgprSrdC+1], s[sgprSrdC+1], 0        // incToNextRow: gra SRD += inc(upper)
_buffer_load_b128 v[12:15], v9, s[sgprSrdC:sgprSrdC+3], 0, offen offset:0 // load C for beta calc
_v_add_lshl_u32 v9, v3, v0, 0x2                    // scaleToBpe: accumulate d0 lower and *= bpe into Cin addr
v_cndmask_b32 v9, -1, v9, s[38:39]                 // LDD clip if OOB. offset
/* (d1,vc1,d0,vc0)=(1,0,1,0) */
_v_add_co_u32 v10, vcc, v0, 8                      // coord0.1: coord0 += d0*sg0*VW + vc0
v_cmp_lt_u32 s[34:35], v10, s[sgprSizeI]           // coord0 < size0
v_cmp_lt_u32 s[38:39], v1, s[sgprSizeJ]            // coord1 < size1
s_and_b64 s[38:39], s[34:35], s[38:39]             // in0 && in1
_v_add_lshl_u32 v20, v2, v10, 0x2                  // scaleToBpe: accumulate d0 lower and *= bpe into Cin addr
v_cndmask_b32 v20, -1, v20, s[38:39]               // LDC clip if OOB. offset
_buffer_load_b128 v[24:27], v20, s[sgprSrdC:sgprSrdC+3], 0, offen offset:0 // load C for beta calc
_v_add_lshl_u32 v20, v3, v10, 0x2                  // scaleToBpe: accumulate d0 lower and *= bpe into Cin addr
v_cndmask_b32 v20, -1, v20, s[38:39]               // LDD clip if OOB. offset
/* (d1,vc1,d0,vc0)=(1,0,2,0) */
_v_add_co_u32 v10, vcc, v0, 16                     // coord0.1: coord0 += d0*sg0*VW + vc0
v_cmp_lt_u32 s[34:35], v10, s[sgprSizeI]           // coord0 < size0
v_cmp_lt_u32 s[38:39], v1, s[sgprSizeJ]            // coord1 < size1
s_and_b64 s[38:39], s[34:35], s[38:39]             // in0 && in1
_v_add_lshl_u32 v21, v2, v10, 0x2                  // scaleToBpe: accumulate d0 lower and *= bpe into Cin addr
v_cndmask_b32 v21, -1, v21, s[38:39]               // LDC clip if OOB. offset
_buffer_load_b128 v[32:35], v21, s[sgprSrdC:sgprSrdC+3], 0, offen offset:0 // load C for beta calc
_v_add_lshl_u32 v21, v3, v10, 0x2                  // scaleToBpe: accumulate d0 lower and *= bpe into Cin addr
v_cndmask_b32 v21, -1, v21, s[38:39]               // LDD clip if OOB. offset
/* (d1,vc1,d0,vc0)=(1,0,3,0) */
_v_add_co_u32 v10, vcc, v0, 24                     // coord0.1: coord0 += d0*sg0*VW + vc0
v_cmp_lt_u32 s[34:35], v10, s[sgprSizeI]           // coord0 < size0
v_cmp_lt_u32 s[38:39], v1, s[sgprSizeJ]            // coord1 < size1
s_and_b64 s[38:39], s[34:35], s[38:39]             // in0 && in1
_v_add_lshl_u32 v22, v2, v10, 0x2                  // scaleToBpe: accumulate d0 lower and *= bpe into Cin addr
v_cndmask_b32 v22, -1, v22, s[38:39]               // LDC clip if OOB. offset
_buffer_load_b128 v[40:43], v22, s[sgprSrdC:sgprSrdC+3], 0, offen offset:0 // load C for beta calc
_v_add_lshl_u32 v22, v3, v10, 0x2                  // scaleToBpe: accumulate d0 lower and *= bpe into Cin addr
v_cndmask_b32 v22, -1, v22, s[38:39]               // LDD clip if OOB. offset
v_accvgpr_read_b32 v[vgprValuC+16], acc16 // copy acc to vreg[16]
v_accvgpr_read_b32 v[vgprValuC+17], acc17 // copy acc to vreg[17]
v_accvgpr_read_b32 v[vgprValuC+18], acc18 // copy acc to vreg[18]
v_accvgpr_read_b32 v[vgprValuC+19], acc19 // copy acc to vreg[19]
v_accvgpr_read_b32 v[vgprValuC+28], acc20 // copy acc to vreg[20]
v_accvgpr_read_b32 v[vgprValuC+29], acc21 // copy acc to vreg[21]
v_accvgpr_read_b32 v[vgprValuC+30], acc22 // copy acc to vreg[22]
v_accvgpr_read_b32 v[vgprValuC+31], acc23 // copy acc to vreg[23]
v_accvgpr_read_b32 v[vgprValuC+36], acc24 // copy acc to vreg[24]
v_accvgpr_read_b32 v[vgprValuC+37], acc25 // copy acc to vreg[25]
v_accvgpr_read_b32 v[vgprValuC+38], acc26 // copy acc to vreg[26]
v_accvgpr_read_b32 v[vgprValuC+39], acc27 // copy acc to vreg[27]
v_accvgpr_read_b32 v[vgprValuC+44], acc28 // copy acc to vreg[28]
v_accvgpr_read_b32 v[vgprValuC+45], acc29 // copy acc to vreg[29]
v_accvgpr_read_b32 v[vgprValuC+46], acc30 // copy acc to vreg[30]
v_accvgpr_read_b32 v[vgprValuC+47], acc31 // copy acc to vreg[31]
s_nop 1                                            // 2 wait states required before reading vgpr

/* rC *= alpha batchElements=[(1, 0, 0, 0), (1, 1, 0, 0), (1, 2, 0, 0), (1, 3, 0, 0)] */
v_mul_lo_u32 v[vgprValuC+16], s[sgprAlpha], v[vgprValuC+16] // *= alpha
v_mul_lo_u32 v[vgprValuC+17], s[sgprAlpha], v[vgprValuC+17] // *= alpha
	;; [unrolled: 1-line block ×16, first 2 shown]
s_waitcnt vmcnt(0)                                 // wait C

/* apply mask, calc new C and issue writes */

/* StoreRemap: shift coord1 address */
s_mul_i32 s34, s[sgprStrideD1J], 128               // scale StrideD *= numRows(32) * bpe
s_add_u32  s[sgprSrdD+0], s[sgprSrdD+0], s34       // incToNextRow: gra SRD += inc(lower)
s_addc_u32  s[sgprSrdD+1], s[sgprSrdD+1], 0        // incToNextRow: gra SRD += inc(upper)
v_mov_b32 v10, 32                                  // set shift rows
_v_add_u32 v5, v5, v10                             // shift storeRemap coord1
v_mul_lo_u32 v12, s[sgprBeta], v12                 // C = C*beta
_v_add_u32 v[vgprValuC+16], v12, v[vgprValuC+16]   // finalSum = sum*alpha + C*beta
v_mul_lo_u32 v13, s[sgprBeta], v13                 // C = C*beta
_v_add_u32 v[vgprValuC+17], v13, v[vgprValuC+17]   // finalSum = sum*alpha + C*beta
v_mul_lo_u32 v14, s[sgprBeta], v14                 // C = C*beta
_v_add_u32 v[vgprValuC+18], v14, v[vgprValuC+18]   // finalSum = sum*alpha + C*beta
v_mul_lo_u32 v15, s[sgprBeta], v15                 // C = C*beta
_v_add_u32 v[vgprValuC+19], v15, v[vgprValuC+19]   // finalSum = sum*alpha + C*beta
_ds_store_b128 v7, v[16:19], offset:0              // storeRemap lw
v_mul_lo_u32 v24, s[sgprBeta], v24                 // C = C*beta
_v_add_u32 v[vgprValuC+28], v24, v[vgprValuC+28]   // finalSum = sum*alpha + C*beta
v_mul_lo_u32 v25, s[sgprBeta], v25                 // C = C*beta
_v_add_u32 v[vgprValuC+29], v25, v[vgprValuC+29]   // finalSum = sum*alpha + C*beta
v_mul_lo_u32 v26, s[sgprBeta], v26                 // C = C*beta
_v_add_u32 v[vgprValuC+30], v26, v[vgprValuC+30]   // finalSum = sum*alpha + C*beta
v_mul_lo_u32 v27, s[sgprBeta], v27                 // C = C*beta
_v_add_u32 v[vgprValuC+31], v27, v[vgprValuC+31]   // finalSum = sum*alpha + C*beta
_ds_store_b128 v7, v[28:31], offset:32             // storeRemap lw
v_mul_lo_u32 v32, s[sgprBeta], v32                 // C = C*beta
_v_add_u32 v[vgprValuC+36], v32, v[vgprValuC+36]   // finalSum = sum*alpha + C*beta
v_mul_lo_u32 v33, s[sgprBeta], v33                 // C = C*beta
_v_add_u32 v[vgprValuC+37], v33, v[vgprValuC+37]   // finalSum = sum*alpha + C*beta
v_mul_lo_u32 v34, s[sgprBeta], v34                 // C = C*beta
_v_add_u32 v[vgprValuC+38], v34, v[vgprValuC+38]   // finalSum = sum*alpha + C*beta
v_mul_lo_u32 v35, s[sgprBeta], v35                 // C = C*beta
_v_add_u32 v[vgprValuC+39], v35, v[vgprValuC+39]   // finalSum = sum*alpha + C*beta
_ds_store_b128 v7, v[36:39], offset:64             // storeRemap lw
	;; [unrolled: 9-line block ×3, first 2 shown]

/* Handle local read and global write */
s_waitcnt lgkmcnt(0)                               // wait for LDS write
s_barrier //wait all lds write finished

_ds_load_b128 v[12:15], v8, offset:0               // storeRemap lr
_ds_load_b128 v[16:19], v8, offset:1056            // storeRemap lr
_ds_load_b128 v[20:23], v8, offset:2112            // storeRemap lr
	;; [unrolled: 1-line block ×3, first 2 shown]

s_waitcnt lgkmcnt(3)                               // wait for LDS read
_v_add_u32 v11, v5, 0                              // coord1 += nColPerLoad
_v_add_u32 v10, v4, 0                              // coord0 += element index of load vector
_v_add_u32 v9, v6, 0                               // offset coord1 += nColPerLoad
v_cmp_lt_u32 s[34:35], v10, s[sgprSizeI]           // coord0 < size0
v_cmp_lt_u32 s[36:37], v11, s[sgprSizeJ]           // coord1 < size1
s_and_b64 s[36:37], s[34:35], s[36:37]             // in0 && in1
v_mul_lo_u32 v9, v9, s[sgprStrideD1J]              // coord1 element offset =  coord1 * StrideD
_v_add_lshl_u32 v9, v9, v10, 0x2                   // scale to BPE
v_cndmask_b32 v9, -1, v9, s[36:37]                 // clip if OOB. offset
_buffer_store_b128 v[12:15], v9, s[sgprSrdD:sgprSrdD+3], 0, offen, offset:0 // store D
s_waitcnt lgkmcnt(2)                               // wait for LDS read
_v_add_u32 v11, v5, 2                              // coord1 += nColPerLoad
_v_add_u32 v10, v4, 0                              // coord0 += element index of load vector
_v_add_u32 v9, v6, 2                               // offset coord1 += nColPerLoad
v_cmp_lt_u32 s[34:35], v10, s[sgprSizeI]           // coord0 < size0
v_cmp_lt_u32 s[36:37], v11, s[sgprSizeJ]           // coord1 < size1
s_and_b64 s[36:37], s[34:35], s[36:37]             // in0 && in1
v_mul_lo_u32 v9, v9, s[sgprStrideD1J]              // coord1 element offset =  coord1 * StrideD
_v_add_lshl_u32 v9, v9, v10, 0x2                   // scale to BPE
v_cndmask_b32 v9, -1, v9, s[36:37]                 // clip if OOB. offset
_buffer_store_b128 v[16:19], v9, s[sgprSrdD:sgprSrdD+3], 0, offen, offset:0 // store D
	;; [unrolled: 11-line block ×4, first 2 shown]

s_barrier //wait all lds read finished
s_nop 0                                            // 1 wait state required when next inst writes vgprs held by previous dwordx4 store inst
/* optSingleColVgpr=0 optSharedColVgpr=0 optSGPRUsage=BufferLoad_Edge_Mask optSrdIncForRow=1 */

/******************************************/
/* Global Write Alpha Beta Edge Batch #2 (d1,d0,vc1,vc0) = */
/*    (2,0,0,0:vw4); (2,1,0,0:vw4); (2,2,0,0:vw4); (2,3,0,0:vw4) */
/******************************************/

/* calc coords, apply mask, and issue loads (if necessary) */
/* (d1,vc1,d0,vc0)=(2,0,0,0) */
_v_add_co_u32 v1, vcc, v1, 32                      // coord1.1: coord1Vgpr += d1*sg1*VW + vc1
v_cmp_lt_u32 s[34:35], v0, s[sgprSizeI]            // coord0 < size0
v_cmp_lt_u32 s[38:39], v1, s[sgprSizeJ]            // coord1 < size1
s_and_b64 s[38:39], s[34:35], s[38:39]             // in0 && in1
_v_add_lshl_u32 v9, v2, v0, 0x2                    // scaleToBpe: accumulate d0 lower and *= bpe into Cin addr
v_cndmask_b32 v9, -1, v9, s[38:39]                 // LDC clip if OOB. offset
s_mul_i32 s34, s[sgprStrideC1J], 128               // scale StrideC *= numRows(32) * bpe
s_add_u32  s[sgprSrdC+0], s[sgprSrdC+0], s34       // incToNextRow: gra SRD += inc(lower)
s_addc_u32  s[sgprSrdC+1], s[sgprSrdC+1], 0        // incToNextRow: gra SRD += inc(upper)
_buffer_load_b128 v[12:15], v9, s[sgprSrdC:sgprSrdC+3], 0, offen offset:0 // load C for beta calc
_v_add_lshl_u32 v9, v3, v0, 0x2                    // scaleToBpe: accumulate d0 lower and *= bpe into Cin addr
v_cndmask_b32 v9, -1, v9, s[38:39]                 // LDD clip if OOB. offset
/* (d1,vc1,d0,vc0)=(2,0,1,0) */
_v_add_co_u32 v10, vcc, v0, 8                      // coord0.1: coord0 += d0*sg0*VW + vc0
v_cmp_lt_u32 s[34:35], v10, s[sgprSizeI]           // coord0 < size0
v_cmp_lt_u32 s[38:39], v1, s[sgprSizeJ]            // coord1 < size1
s_and_b64 s[38:39], s[34:35], s[38:39]             // in0 && in1
_v_add_lshl_u32 v20, v2, v10, 0x2                  // scaleToBpe: accumulate d0 lower and *= bpe into Cin addr
v_cndmask_b32 v20, -1, v20, s[38:39]               // LDC clip if OOB. offset
_buffer_load_b128 v[24:27], v20, s[sgprSrdC:sgprSrdC+3], 0, offen offset:0 // load C for beta calc
_v_add_lshl_u32 v20, v3, v10, 0x2                  // scaleToBpe: accumulate d0 lower and *= bpe into Cin addr
v_cndmask_b32 v20, -1, v20, s[38:39]               // LDD clip if OOB. offset
/* (d1,vc1,d0,vc0)=(2,0,2,0) */
_v_add_co_u32 v10, vcc, v0, 16                     // coord0.1: coord0 += d0*sg0*VW + vc0
v_cmp_lt_u32 s[34:35], v10, s[sgprSizeI]           // coord0 < size0
v_cmp_lt_u32 s[38:39], v1, s[sgprSizeJ]            // coord1 < size1
s_and_b64 s[38:39], s[34:35], s[38:39]             // in0 && in1
_v_add_lshl_u32 v21, v2, v10, 0x2                  // scaleToBpe: accumulate d0 lower and *= bpe into Cin addr
v_cndmask_b32 v21, -1, v21, s[38:39]               // LDC clip if OOB. offset
_buffer_load_b128 v[32:35], v21, s[sgprSrdC:sgprSrdC+3], 0, offen offset:0 // load C for beta calc
_v_add_lshl_u32 v21, v3, v10, 0x2                  // scaleToBpe: accumulate d0 lower and *= bpe into Cin addr
v_cndmask_b32 v21, -1, v21, s[38:39]               // LDD clip if OOB. offset
/* (d1,vc1,d0,vc0)=(2,0,3,0) */
_v_add_co_u32 v10, vcc, v0, 24                     // coord0.1: coord0 += d0*sg0*VW + vc0
v_cmp_lt_u32 s[34:35], v10, s[sgprSizeI]           // coord0 < size0
v_cmp_lt_u32 s[38:39], v1, s[sgprSizeJ]            // coord1 < size1
s_and_b64 s[38:39], s[34:35], s[38:39]             // in0 && in1
_v_add_lshl_u32 v22, v2, v10, 0x2                  // scaleToBpe: accumulate d0 lower and *= bpe into Cin addr
v_cndmask_b32 v22, -1, v22, s[38:39]               // LDC clip if OOB. offset
_buffer_load_b128 v[40:43], v22, s[sgprSrdC:sgprSrdC+3], 0, offen offset:0 // load C for beta calc
_v_add_lshl_u32 v22, v3, v10, 0x2                  // scaleToBpe: accumulate d0 lower and *= bpe into Cin addr
v_cndmask_b32 v22, -1, v22, s[38:39]               // LDD clip if OOB. offset
v_accvgpr_read_b32 v[vgprValuC+16], acc32 // copy acc to vreg[32]
v_accvgpr_read_b32 v[vgprValuC+17], acc33 // copy acc to vreg[33]
v_accvgpr_read_b32 v[vgprValuC+18], acc34 // copy acc to vreg[34]
v_accvgpr_read_b32 v[vgprValuC+19], acc35 // copy acc to vreg[35]
v_accvgpr_read_b32 v[vgprValuC+28], acc36 // copy acc to vreg[36]
v_accvgpr_read_b32 v[vgprValuC+29], acc37 // copy acc to vreg[37]
v_accvgpr_read_b32 v[vgprValuC+30], acc38 // copy acc to vreg[38]
v_accvgpr_read_b32 v[vgprValuC+31], acc39 // copy acc to vreg[39]
v_accvgpr_read_b32 v[vgprValuC+36], acc40 // copy acc to vreg[40]
v_accvgpr_read_b32 v[vgprValuC+37], acc41 // copy acc to vreg[41]
v_accvgpr_read_b32 v[vgprValuC+38], acc42 // copy acc to vreg[42]
v_accvgpr_read_b32 v[vgprValuC+39], acc43 // copy acc to vreg[43]
v_accvgpr_read_b32 v[vgprValuC+44], acc44 // copy acc to vreg[44]
v_accvgpr_read_b32 v[vgprValuC+45], acc45 // copy acc to vreg[45]
v_accvgpr_read_b32 v[vgprValuC+46], acc46 // copy acc to vreg[46]
v_accvgpr_read_b32 v[vgprValuC+47], acc47 // copy acc to vreg[47]
s_nop 1                                            // 2 wait states required before reading vgpr

/* rC *= alpha batchElements=[(2, 0, 0, 0), (2, 1, 0, 0), (2, 2, 0, 0), (2, 3, 0, 0)] */
v_mul_lo_u32 v[vgprValuC+16], s[sgprAlpha], v[vgprValuC+16] // *= alpha
v_mul_lo_u32 v[vgprValuC+17], s[sgprAlpha], v[vgprValuC+17] // *= alpha
	;; [unrolled: 1-line block ×16, first 2 shown]
s_waitcnt vmcnt(0)                                 // wait C

/* apply mask, calc new C and issue writes */

/* StoreRemap: shift coord1 address */
s_mul_i32 s34, s[sgprStrideD1J], 128               // scale StrideD *= numRows(32) * bpe
s_add_u32  s[sgprSrdD+0], s[sgprSrdD+0], s34       // incToNextRow: gra SRD += inc(lower)
s_addc_u32  s[sgprSrdD+1], s[sgprSrdD+1], 0        // incToNextRow: gra SRD += inc(upper)
v_mov_b32 v10, 32                                  // set shift rows
_v_add_u32 v5, v5, v10                             // shift storeRemap coord1
v_mul_lo_u32 v12, s[sgprBeta], v12                 // C = C*beta
_v_add_u32 v[vgprValuC+16], v12, v[vgprValuC+16]   // finalSum = sum*alpha + C*beta
v_mul_lo_u32 v13, s[sgprBeta], v13                 // C = C*beta
_v_add_u32 v[vgprValuC+17], v13, v[vgprValuC+17]   // finalSum = sum*alpha + C*beta
	;; [unrolled: 2-line block ×4, first 2 shown]
_ds_store_b128 v7, v[16:19], offset:0              // storeRemap lw
v_mul_lo_u32 v24, s[sgprBeta], v24                 // C = C*beta
_v_add_u32 v[vgprValuC+28], v24, v[vgprValuC+28]   // finalSum = sum*alpha + C*beta
v_mul_lo_u32 v25, s[sgprBeta], v25                 // C = C*beta
_v_add_u32 v[vgprValuC+29], v25, v[vgprValuC+29]   // finalSum = sum*alpha + C*beta
v_mul_lo_u32 v26, s[sgprBeta], v26                 // C = C*beta
_v_add_u32 v[vgprValuC+30], v26, v[vgprValuC+30]   // finalSum = sum*alpha + C*beta
v_mul_lo_u32 v27, s[sgprBeta], v27                 // C = C*beta
_v_add_u32 v[vgprValuC+31], v27, v[vgprValuC+31]   // finalSum = sum*alpha + C*beta
_ds_store_b128 v7, v[28:31], offset:32             // storeRemap lw
v_mul_lo_u32 v32, s[sgprBeta], v32                 // C = C*beta
_v_add_u32 v[vgprValuC+36], v32, v[vgprValuC+36]   // finalSum = sum*alpha + C*beta
v_mul_lo_u32 v33, s[sgprBeta], v33                 // C = C*beta
_v_add_u32 v[vgprValuC+37], v33, v[vgprValuC+37]   // finalSum = sum*alpha + C*beta
v_mul_lo_u32 v34, s[sgprBeta], v34                 // C = C*beta
_v_add_u32 v[vgprValuC+38], v34, v[vgprValuC+38]   // finalSum = sum*alpha + C*beta
v_mul_lo_u32 v35, s[sgprBeta], v35                 // C = C*beta
_v_add_u32 v[vgprValuC+39], v35, v[vgprValuC+39]   // finalSum = sum*alpha + C*beta
_ds_store_b128 v7, v[36:39], offset:64             // storeRemap lw
	;; [unrolled: 9-line block ×3, first 2 shown]

/* Handle local read and global write */
s_waitcnt lgkmcnt(0)                               // wait for LDS write
s_barrier //wait all lds write finished

_ds_load_b128 v[12:15], v8, offset:0               // storeRemap lr
_ds_load_b128 v[16:19], v8, offset:1056            // storeRemap lr
_ds_load_b128 v[20:23], v8, offset:2112            // storeRemap lr
	;; [unrolled: 1-line block ×3, first 2 shown]

s_waitcnt lgkmcnt(3)                               // wait for LDS read
_v_add_u32 v11, v5, 0                              // coord1 += nColPerLoad
_v_add_u32 v10, v4, 0                              // coord0 += element index of load vector
_v_add_u32 v9, v6, 0                               // offset coord1 += nColPerLoad
v_cmp_lt_u32 s[34:35], v10, s[sgprSizeI]           // coord0 < size0
v_cmp_lt_u32 s[36:37], v11, s[sgprSizeJ]           // coord1 < size1
s_and_b64 s[36:37], s[34:35], s[36:37]             // in0 && in1
v_mul_lo_u32 v9, v9, s[sgprStrideD1J]              // coord1 element offset =  coord1 * StrideD
_v_add_lshl_u32 v9, v9, v10, 0x2                   // scale to BPE
v_cndmask_b32 v9, -1, v9, s[36:37]                 // clip if OOB. offset
_buffer_store_b128 v[12:15], v9, s[sgprSrdD:sgprSrdD+3], 0, offen, offset:0 // store D
s_waitcnt lgkmcnt(2)                               // wait for LDS read
_v_add_u32 v11, v5, 2                              // coord1 += nColPerLoad
_v_add_u32 v10, v4, 0                              // coord0 += element index of load vector
_v_add_u32 v9, v6, 2                               // offset coord1 += nColPerLoad
v_cmp_lt_u32 s[34:35], v10, s[sgprSizeI]           // coord0 < size0
v_cmp_lt_u32 s[36:37], v11, s[sgprSizeJ]           // coord1 < size1
s_and_b64 s[36:37], s[34:35], s[36:37]             // in0 && in1
v_mul_lo_u32 v9, v9, s[sgprStrideD1J]              // coord1 element offset =  coord1 * StrideD
_v_add_lshl_u32 v9, v9, v10, 0x2                   // scale to BPE
v_cndmask_b32 v9, -1, v9, s[36:37]                 // clip if OOB. offset
_buffer_store_b128 v[16:19], v9, s[sgprSrdD:sgprSrdD+3], 0, offen, offset:0 // store D
	;; [unrolled: 11-line block ×4, first 2 shown]

s_barrier //wait all lds read finished
s_nop 0                                            // 1 wait state required when next inst writes vgprs held by previous dwordx4 store inst
s_branch label_GW_End_92                           // jump to end
label_GW_End_92:

label_0097:  /// KernelEnd
s_endpgm                                           // Kernel End

